;; amdgpu-corpus repo=ROCm/rocFFT kind=compiled arch=gfx906 opt=O3
	.text
	.amdgcn_target "amdgcn-amd-amdhsa--gfx906"
	.amdhsa_code_object_version 6
	.protected	fft_rtc_back_len1260_factors_2_2_3_3_5_7_wgs_63_tpt_63_halfLds_half_op_CI_CI_sbrr_dirReg ; -- Begin function fft_rtc_back_len1260_factors_2_2_3_3_5_7_wgs_63_tpt_63_halfLds_half_op_CI_CI_sbrr_dirReg
	.globl	fft_rtc_back_len1260_factors_2_2_3_3_5_7_wgs_63_tpt_63_halfLds_half_op_CI_CI_sbrr_dirReg
	.p2align	8
	.type	fft_rtc_back_len1260_factors_2_2_3_3_5_7_wgs_63_tpt_63_halfLds_half_op_CI_CI_sbrr_dirReg,@function
fft_rtc_back_len1260_factors_2_2_3_3_5_7_wgs_63_tpt_63_halfLds_half_op_CI_CI_sbrr_dirReg: ; @fft_rtc_back_len1260_factors_2_2_3_3_5_7_wgs_63_tpt_63_halfLds_half_op_CI_CI_sbrr_dirReg
; %bb.0:
	s_load_dwordx4 s[16:19], s[4:5], 0x18
	s_load_dwordx4 s[8:11], s[4:5], 0x0
	;; [unrolled: 1-line block ×3, first 2 shown]
	v_mul_u32_u24_e32 v1, 0x411, v0
	v_mov_b32_e32 v7, 0
	s_waitcnt lgkmcnt(0)
	s_load_dwordx2 s[20:21], s[16:17], 0x0
	s_load_dwordx2 s[2:3], s[18:19], 0x0
	v_cmp_lt_u64_e64 s[0:1], s[10:11], 2
	v_mov_b32_e32 v5, 0
	v_add_u32_sdwa v9, s6, v1 dst_sel:DWORD dst_unused:UNUSED_PAD src0_sel:DWORD src1_sel:WORD_1
	v_mov_b32_e32 v10, v7
	s_and_b64 vcc, exec, s[0:1]
	v_mov_b32_e32 v6, 0
	s_cbranch_vccnz .LBB0_8
; %bb.1:
	s_load_dwordx2 s[0:1], s[4:5], 0x10
	s_add_u32 s6, s18, 8
	s_addc_u32 s7, s19, 0
	s_add_u32 s22, s16, 8
	s_addc_u32 s23, s17, 0
	v_mov_b32_e32 v5, 0
	s_waitcnt lgkmcnt(0)
	s_add_u32 s24, s0, 8
	v_mov_b32_e32 v6, 0
	v_mov_b32_e32 v1, v5
	s_addc_u32 s25, s1, 0
	s_mov_b64 s[26:27], 1
	v_mov_b32_e32 v2, v6
.LBB0_2:                                ; =>This Inner Loop Header: Depth=1
	s_load_dwordx2 s[28:29], s[24:25], 0x0
                                        ; implicit-def: $vgpr3_vgpr4
	s_waitcnt lgkmcnt(0)
	v_or_b32_e32 v8, s29, v10
	v_cmp_ne_u64_e32 vcc, 0, v[7:8]
	s_and_saveexec_b64 s[0:1], vcc
	s_xor_b64 s[30:31], exec, s[0:1]
	s_cbranch_execz .LBB0_4
; %bb.3:                                ;   in Loop: Header=BB0_2 Depth=1
	v_cvt_f32_u32_e32 v3, s28
	v_cvt_f32_u32_e32 v4, s29
	s_sub_u32 s0, 0, s28
	s_subb_u32 s1, 0, s29
	v_mac_f32_e32 v3, 0x4f800000, v4
	v_rcp_f32_e32 v3, v3
	v_mul_f32_e32 v3, 0x5f7ffffc, v3
	v_mul_f32_e32 v4, 0x2f800000, v3
	v_trunc_f32_e32 v4, v4
	v_mac_f32_e32 v3, 0xcf800000, v4
	v_cvt_u32_f32_e32 v4, v4
	v_cvt_u32_f32_e32 v3, v3
	v_mul_lo_u32 v8, s0, v4
	v_mul_hi_u32 v11, s0, v3
	v_mul_lo_u32 v13, s1, v3
	v_mul_lo_u32 v12, s0, v3
	v_add_u32_e32 v8, v11, v8
	v_add_u32_e32 v8, v8, v13
	v_mul_hi_u32 v11, v3, v12
	v_mul_lo_u32 v13, v3, v8
	v_mul_hi_u32 v15, v3, v8
	v_mul_hi_u32 v14, v4, v12
	v_mul_lo_u32 v12, v4, v12
	v_mul_hi_u32 v16, v4, v8
	v_add_co_u32_e32 v11, vcc, v11, v13
	v_addc_co_u32_e32 v13, vcc, 0, v15, vcc
	v_mul_lo_u32 v8, v4, v8
	v_add_co_u32_e32 v11, vcc, v11, v12
	v_addc_co_u32_e32 v11, vcc, v13, v14, vcc
	v_addc_co_u32_e32 v12, vcc, 0, v16, vcc
	v_add_co_u32_e32 v8, vcc, v11, v8
	v_addc_co_u32_e32 v11, vcc, 0, v12, vcc
	v_add_co_u32_e32 v3, vcc, v3, v8
	v_addc_co_u32_e32 v4, vcc, v4, v11, vcc
	v_mul_lo_u32 v8, s0, v4
	v_mul_hi_u32 v11, s0, v3
	v_mul_lo_u32 v12, s1, v3
	v_mul_lo_u32 v13, s0, v3
	v_add_u32_e32 v8, v11, v8
	v_add_u32_e32 v8, v8, v12
	v_mul_lo_u32 v14, v3, v8
	v_mul_hi_u32 v15, v3, v13
	v_mul_hi_u32 v16, v3, v8
	;; [unrolled: 1-line block ×3, first 2 shown]
	v_mul_lo_u32 v13, v4, v13
	v_mul_hi_u32 v11, v4, v8
	v_add_co_u32_e32 v14, vcc, v15, v14
	v_addc_co_u32_e32 v15, vcc, 0, v16, vcc
	v_mul_lo_u32 v8, v4, v8
	v_add_co_u32_e32 v13, vcc, v14, v13
	v_addc_co_u32_e32 v12, vcc, v15, v12, vcc
	v_addc_co_u32_e32 v11, vcc, 0, v11, vcc
	v_add_co_u32_e32 v8, vcc, v12, v8
	v_addc_co_u32_e32 v11, vcc, 0, v11, vcc
	v_add_co_u32_e32 v8, vcc, v3, v8
	v_addc_co_u32_e32 v11, vcc, v4, v11, vcc
	v_mad_u64_u32 v[3:4], s[0:1], v9, v11, 0
	v_mul_hi_u32 v12, v9, v8
	v_add_co_u32_e32 v13, vcc, v12, v3
	v_addc_co_u32_e32 v14, vcc, 0, v4, vcc
	v_mad_u64_u32 v[3:4], s[0:1], v10, v8, 0
	v_mad_u64_u32 v[11:12], s[0:1], v10, v11, 0
	v_add_co_u32_e32 v3, vcc, v13, v3
	v_addc_co_u32_e32 v3, vcc, v14, v4, vcc
	v_addc_co_u32_e32 v4, vcc, 0, v12, vcc
	v_add_co_u32_e32 v8, vcc, v3, v11
	v_addc_co_u32_e32 v11, vcc, 0, v4, vcc
	v_mul_lo_u32 v12, s29, v8
	v_mul_lo_u32 v13, s28, v11
	v_mad_u64_u32 v[3:4], s[0:1], s28, v8, 0
	v_add3_u32 v4, v4, v13, v12
	v_sub_u32_e32 v12, v10, v4
	v_mov_b32_e32 v13, s29
	v_sub_co_u32_e32 v3, vcc, v9, v3
	v_subb_co_u32_e64 v12, s[0:1], v12, v13, vcc
	v_subrev_co_u32_e64 v13, s[0:1], s28, v3
	v_subbrev_co_u32_e64 v12, s[0:1], 0, v12, s[0:1]
	v_cmp_le_u32_e64 s[0:1], s29, v12
	v_cndmask_b32_e64 v14, 0, -1, s[0:1]
	v_cmp_le_u32_e64 s[0:1], s28, v13
	v_cndmask_b32_e64 v13, 0, -1, s[0:1]
	v_cmp_eq_u32_e64 s[0:1], s29, v12
	v_cndmask_b32_e64 v12, v14, v13, s[0:1]
	v_add_co_u32_e64 v13, s[0:1], 2, v8
	v_addc_co_u32_e64 v14, s[0:1], 0, v11, s[0:1]
	v_add_co_u32_e64 v15, s[0:1], 1, v8
	v_addc_co_u32_e64 v16, s[0:1], 0, v11, s[0:1]
	v_subb_co_u32_e32 v4, vcc, v10, v4, vcc
	v_cmp_ne_u32_e64 s[0:1], 0, v12
	v_cmp_le_u32_e32 vcc, s29, v4
	v_cndmask_b32_e64 v12, v16, v14, s[0:1]
	v_cndmask_b32_e64 v14, 0, -1, vcc
	v_cmp_le_u32_e32 vcc, s28, v3
	v_cndmask_b32_e64 v3, 0, -1, vcc
	v_cmp_eq_u32_e32 vcc, s29, v4
	v_cndmask_b32_e32 v3, v14, v3, vcc
	v_cmp_ne_u32_e32 vcc, 0, v3
	v_cndmask_b32_e64 v3, v15, v13, s[0:1]
	v_cndmask_b32_e32 v4, v11, v12, vcc
	v_cndmask_b32_e32 v3, v8, v3, vcc
.LBB0_4:                                ;   in Loop: Header=BB0_2 Depth=1
	s_andn2_saveexec_b64 s[0:1], s[30:31]
	s_cbranch_execz .LBB0_6
; %bb.5:                                ;   in Loop: Header=BB0_2 Depth=1
	v_cvt_f32_u32_e32 v3, s28
	s_sub_i32 s30, 0, s28
	v_rcp_iflag_f32_e32 v3, v3
	v_mul_f32_e32 v3, 0x4f7ffffe, v3
	v_cvt_u32_f32_e32 v3, v3
	v_mul_lo_u32 v4, s30, v3
	v_mul_hi_u32 v4, v3, v4
	v_add_u32_e32 v3, v3, v4
	v_mul_hi_u32 v3, v9, v3
	v_mul_lo_u32 v4, v3, s28
	v_add_u32_e32 v8, 1, v3
	v_sub_u32_e32 v4, v9, v4
	v_subrev_u32_e32 v11, s28, v4
	v_cmp_le_u32_e32 vcc, s28, v4
	v_cndmask_b32_e32 v4, v4, v11, vcc
	v_cndmask_b32_e32 v3, v3, v8, vcc
	v_add_u32_e32 v8, 1, v3
	v_cmp_le_u32_e32 vcc, s28, v4
	v_cndmask_b32_e32 v3, v3, v8, vcc
	v_mov_b32_e32 v4, v7
.LBB0_6:                                ;   in Loop: Header=BB0_2 Depth=1
	s_or_b64 exec, exec, s[0:1]
	v_mul_lo_u32 v8, v4, s28
	v_mul_lo_u32 v13, v3, s29
	v_mad_u64_u32 v[11:12], s[0:1], v3, s28, 0
	s_load_dwordx2 s[0:1], s[22:23], 0x0
	s_load_dwordx2 s[28:29], s[6:7], 0x0
	v_add3_u32 v8, v12, v13, v8
	v_sub_co_u32_e32 v9, vcc, v9, v11
	v_subb_co_u32_e32 v8, vcc, v10, v8, vcc
	s_waitcnt lgkmcnt(0)
	v_mul_lo_u32 v10, s0, v8
	v_mul_lo_u32 v11, s1, v9
	v_mad_u64_u32 v[5:6], s[0:1], s0, v9, v[5:6]
	v_mul_lo_u32 v8, s28, v8
	v_mul_lo_u32 v12, s29, v9
	v_mad_u64_u32 v[1:2], s[0:1], s28, v9, v[1:2]
	s_add_u32 s26, s26, 1
	s_addc_u32 s27, s27, 0
	s_add_u32 s6, s6, 8
	v_add3_u32 v2, v12, v2, v8
	s_addc_u32 s7, s7, 0
	v_mov_b32_e32 v8, s10
	s_add_u32 s22, s22, 8
	v_mov_b32_e32 v9, s11
	s_addc_u32 s23, s23, 0
	v_cmp_ge_u64_e32 vcc, s[26:27], v[8:9]
	s_add_u32 s24, s24, 8
	v_add3_u32 v6, v11, v6, v10
	s_addc_u32 s25, s25, 0
	s_cbranch_vccnz .LBB0_9
; %bb.7:                                ;   in Loop: Header=BB0_2 Depth=1
	v_mov_b32_e32 v10, v4
	v_mov_b32_e32 v9, v3
	s_branch .LBB0_2
.LBB0_8:
	v_mov_b32_e32 v1, v5
	v_mov_b32_e32 v3, v9
	;; [unrolled: 1-line block ×4, first 2 shown]
.LBB0_9:
	s_load_dwordx2 s[0:1], s[4:5], 0x28
	s_lshl_b64 s[10:11], s[10:11], 3
	s_add_u32 s4, s18, s10
	s_addc_u32 s5, s19, s11
                                        ; implicit-def: $sgpr18
                                        ; implicit-def: $vgpr7
                                        ; implicit-def: $vgpr9
                                        ; implicit-def: $vgpr8
                                        ; implicit-def: $vgpr10
                                        ; implicit-def: $vgpr11
                                        ; implicit-def: $vgpr12
                                        ; implicit-def: $vgpr13
                                        ; implicit-def: $vgpr16
                                        ; implicit-def: $vgpr15
                                        ; implicit-def: $vgpr17
	s_waitcnt lgkmcnt(0)
	v_cmp_gt_u64_e32 vcc, s[0:1], v[3:4]
	v_cmp_le_u64_e64 s[0:1], s[0:1], v[3:4]
	s_and_saveexec_b64 s[6:7], s[0:1]
	s_xor_b64 s[0:1], exec, s[6:7]
	s_cbranch_execz .LBB0_11
; %bb.10:
	s_mov_b32 s6, 0x4104105
	v_mul_hi_u32 v5, v0, s6
	s_mov_b32 s18, 0
	v_mul_u32_u24_e32 v5, 63, v5
	v_sub_u32_e32 v7, v0, v5
	v_add_u32_e32 v9, 63, v7
	v_add_u32_e32 v8, 0x7e, v7
	v_add_u32_e32 v10, 0xbd, v7
	v_add_u32_e32 v11, 0xfc, v7
	v_add_u32_e32 v12, 0x13b, v7
	v_add_u32_e32 v13, 0x17a, v7
	v_add_u32_e32 v16, 0x1b9, v7
	v_add_u32_e32 v15, 0x1f8, v7
	v_add_u32_e32 v17, 0x237, v7
                                        ; implicit-def: $vgpr0
                                        ; implicit-def: $vgpr5_vgpr6
.LBB0_11:
	s_or_saveexec_b64 s[6:7], s[0:1]
	v_mov_b32_e32 v14, s18
	v_mov_b32_e32 v22, s18
	;; [unrolled: 1-line block ×10, first 2 shown]
                                        ; implicit-def: $vgpr41
                                        ; implicit-def: $vgpr24
                                        ; implicit-def: $vgpr48
                                        ; implicit-def: $vgpr23
                                        ; implicit-def: $vgpr47
                                        ; implicit-def: $vgpr21
                                        ; implicit-def: $vgpr45
                                        ; implicit-def: $vgpr20
                                        ; implicit-def: $vgpr44
                                        ; implicit-def: $vgpr36
                                        ; implicit-def: $vgpr40
                                        ; implicit-def: $vgpr35
                                        ; implicit-def: $vgpr37
                                        ; implicit-def: $vgpr34
                                        ; implicit-def: $vgpr33
                                        ; implicit-def: $vgpr32
                                        ; implicit-def: $vgpr31
                                        ; implicit-def: $vgpr38
                                        ; implicit-def: $vgpr30
                                        ; implicit-def: $vgpr39
	s_xor_b64 exec, exec, s[6:7]
	s_cbranch_execz .LBB0_13
; %bb.12:
	s_add_u32 s0, s16, s10
	s_mov_b32 s10, 0x4104105
	v_mul_hi_u32 v7, v0, s10
	s_addc_u32 s1, s17, s11
	s_load_dwordx2 s[0:1], s[0:1], 0x0
	v_lshlrev_b64 v[5:6], 2, v[5:6]
	v_mul_u32_u24_e32 v7, 63, v7
	v_sub_u32_e32 v7, v0, v7
	v_mad_u64_u32 v[8:9], s[10:11], s20, v7, 0
	s_waitcnt lgkmcnt(0)
	v_mul_lo_u32 v14, s1, v3
	v_mul_lo_u32 v15, s0, v4
	v_mad_u64_u32 v[10:11], s[0:1], s0, v3, 0
	v_mov_b32_e32 v0, v9
	v_mad_u64_u32 v[12:13], s[0:1], s21, v7, v[0:1]
	v_add3_u32 v11, v11, v15, v14
	v_lshlrev_b64 v[10:11], 2, v[10:11]
	v_mov_b32_e32 v9, v12
	v_mov_b32_e32 v0, s13
	v_add_co_u32_e64 v12, s[0:1], s12, v10
	v_add_u32_e32 v13, 0x276, v7
	v_addc_co_u32_e64 v0, s[0:1], v0, v11, s[0:1]
	v_mad_u64_u32 v[10:11], s[0:1], s20, v13, 0
	v_add_co_u32_e64 v53, s[0:1], v12, v5
	v_addc_co_u32_e64 v54, s[0:1], v0, v6, s[0:1]
	v_mov_b32_e32 v0, v11
	v_lshlrev_b64 v[5:6], 2, v[8:9]
	v_mad_u64_u32 v[8:9], s[0:1], s21, v13, v[0:1]
	v_add_u32_e32 v9, 63, v7
	v_mad_u64_u32 v[12:13], s[0:1], s20, v9, 0
	v_add_co_u32_e64 v5, s[0:1], v53, v5
	v_mov_b32_e32 v0, v13
	v_addc_co_u32_e64 v6, s[0:1], v54, v6, s[0:1]
	v_mov_b32_e32 v11, v8
	v_mad_u64_u32 v[13:14], s[0:1], s21, v9, v[0:1]
	v_add_u32_e32 v8, 0x2b5, v7
	v_mad_u64_u32 v[14:15], s[0:1], s20, v8, 0
	v_lshlrev_b64 v[10:11], 2, v[10:11]
	v_add_u32_e32 v20, 0x333, v7
	v_add_co_u32_e64 v16, s[0:1], v53, v10
	v_mov_b32_e32 v0, v15
	v_addc_co_u32_e64 v17, s[0:1], v54, v11, s[0:1]
	v_lshlrev_b64 v[10:11], 2, v[12:13]
	v_mad_u64_u32 v[12:13], s[0:1], s21, v8, v[0:1]
	v_add_u32_e32 v8, 0x7e, v7
	v_mad_u64_u32 v[18:19], s[0:1], s20, v8, 0
	v_add_co_u32_e64 v25, s[0:1], v53, v10
	v_mov_b32_e32 v15, v12
	v_mov_b32_e32 v0, v19
	v_addc_co_u32_e64 v26, s[0:1], v54, v11, s[0:1]
	v_lshlrev_b64 v[10:11], 2, v[14:15]
	v_mad_u64_u32 v[12:13], s[0:1], s21, v8, v[0:1]
	v_add_u32_e32 v15, 0x2f4, v7
	v_mad_u64_u32 v[13:14], s[0:1], s20, v15, 0
	v_add_co_u32_e64 v27, s[0:1], v53, v10
	v_mov_b32_e32 v19, v12
	v_add_u32_e32 v10, 0xbd, v7
	v_addc_co_u32_e64 v28, s[0:1], v54, v11, s[0:1]
	v_lshlrev_b64 v[11:12], 2, v[18:19]
	v_mov_b32_e32 v0, v14
	v_mad_u64_u32 v[18:19], s[0:1], s20, v10, 0
	v_mad_u64_u32 v[14:15], s[0:1], s21, v15, v[0:1]
	v_add_co_u32_e64 v29, s[0:1], v53, v11
	v_mov_b32_e32 v0, v19
	v_addc_co_u32_e64 v30, s[0:1], v54, v12, s[0:1]
	v_lshlrev_b64 v[11:12], 2, v[13:14]
	v_mad_u64_u32 v[13:14], s[0:1], s21, v10, v[0:1]
	v_mad_u64_u32 v[14:15], s[0:1], s20, v20, 0
	v_add_co_u32_e64 v31, s[0:1], v53, v11
	v_mov_b32_e32 v19, v13
	v_mov_b32_e32 v0, v15
	v_addc_co_u32_e64 v32, s[0:1], v54, v12, s[0:1]
	v_lshlrev_b64 v[11:12], 2, v[18:19]
	v_mad_u64_u32 v[18:19], s[0:1], s21, v20, v[0:1]
	v_add_co_u32_e64 v33, s[0:1], v53, v11
	v_add_u32_e32 v11, 0xfc, v7
	v_addc_co_u32_e64 v34, s[0:1], v54, v12, s[0:1]
	v_mad_u64_u32 v[35:36], s[0:1], s20, v11, 0
	v_mov_b32_e32 v15, v18
	v_lshlrev_b64 v[12:13], 2, v[14:15]
	v_mov_b32_e32 v0, v36
	v_add_co_u32_e64 v12, s[0:1], v53, v12
	v_addc_co_u32_e64 v13, s[0:1], v54, v13, s[0:1]
	v_mad_u64_u32 v[36:37], s[0:1], s21, v11, v[0:1]
	v_add_u32_e32 v15, 0x372, v7
	v_mad_u64_u32 v[37:38], s[0:1], s20, v15, 0
	global_load_dword v14, v[5:6], off
	global_load_dword v24, v[16:17], off
	;; [unrolled: 1-line block ×8, first 2 shown]
	v_add_u32_e32 v12, 0x13b, v7
	v_mov_b32_e32 v0, v38
	v_mad_u64_u32 v[15:16], s[0:1], s21, v15, v[0:1]
	v_mad_u64_u32 v[16:17], s[0:1], s20, v12, 0
	v_lshlrev_b64 v[5:6], 2, v[35:36]
	v_add_u32_e32 v13, 0x3b1, v7
	v_add_co_u32_e64 v5, s[0:1], v53, v5
	v_mov_b32_e32 v0, v17
	v_addc_co_u32_e64 v6, s[0:1], v54, v6, s[0:1]
	v_mad_u64_u32 v[27:28], s[0:1], s21, v12, v[0:1]
	v_mad_u64_u32 v[28:29], s[0:1], s20, v13, 0
	v_mov_b32_e32 v38, v15
	v_lshlrev_b64 v[25:26], 2, v[37:38]
	v_mov_b32_e32 v0, v29
	v_add_co_u32_e64 v30, s[0:1], v53, v25
	v_addc_co_u32_e64 v31, s[0:1], v54, v26, s[0:1]
	v_mad_u64_u32 v[25:26], s[0:1], s21, v13, v[0:1]
	v_add_u32_e32 v13, 0x17a, v7
	v_mov_b32_e32 v17, v27
	v_mad_u64_u32 v[26:27], s[0:1], s20, v13, 0
	v_lshlrev_b64 v[15:16], 2, v[16:17]
	v_mov_b32_e32 v29, v25
	v_add_co_u32_e64 v37, s[0:1], v53, v15
	v_mov_b32_e32 v0, v27
	v_addc_co_u32_e64 v38, s[0:1], v54, v16, s[0:1]
	v_lshlrev_b64 v[15:16], 2, v[28:29]
	v_mad_u64_u32 v[27:28], s[0:1], s21, v13, v[0:1]
	v_add_u32_e32 v17, 0x3f0, v7
	v_mad_u64_u32 v[28:29], s[0:1], s20, v17, 0
	v_add_co_u32_e64 v39, s[0:1], v53, v15
	v_mov_b32_e32 v0, v29
	v_addc_co_u32_e64 v40, s[0:1], v54, v16, s[0:1]
	v_mad_u64_u32 v[15:16], s[0:1], s21, v17, v[0:1]
	v_add_u32_e32 v16, 0x1b9, v7
	v_mad_u64_u32 v[32:33], s[0:1], s20, v16, 0
	v_lshlrev_b64 v[25:26], 2, v[26:27]
	v_mov_b32_e32 v29, v15
	v_add_co_u32_e64 v41, s[0:1], v53, v25
	v_mov_b32_e32 v0, v33
	v_addc_co_u32_e64 v42, s[0:1], v54, v26, s[0:1]
	v_lshlrev_b64 v[25:26], 2, v[28:29]
	v_mad_u64_u32 v[27:28], s[0:1], s21, v16, v[0:1]
	v_add_u32_e32 v15, 0x42f, v7
	v_mad_u64_u32 v[28:29], s[0:1], s20, v15, 0
	v_add_co_u32_e64 v43, s[0:1], v53, v25
	v_mov_b32_e32 v33, v27
	v_mov_b32_e32 v0, v29
	v_addc_co_u32_e64 v44, s[0:1], v54, v26, s[0:1]
	v_lshlrev_b64 v[25:26], 2, v[32:33]
	v_mad_u64_u32 v[32:33], s[0:1], s21, v15, v[0:1]
	v_add_co_u32_e64 v45, s[0:1], v53, v25
	v_add_u32_e32 v15, 0x1f8, v7
	v_addc_co_u32_e64 v46, s[0:1], v54, v26, s[0:1]
	v_mad_u64_u32 v[47:48], s[0:1], s20, v15, 0
	v_mov_b32_e32 v29, v32
	v_lshlrev_b64 v[25:26], 2, v[28:29]
	v_mov_b32_e32 v0, v48
	v_add_co_u32_e64 v49, s[0:1], v53, v25
	v_add_u32_e32 v17, 0x46e, v7
	v_addc_co_u32_e64 v50, s[0:1], v54, v26, s[0:1]
	v_mad_u64_u32 v[33:34], s[0:1], s21, v15, v[0:1]
	v_mad_u64_u32 v[51:52], s[0:1], s20, v17, 0
	v_mov_b32_e32 v48, v33
	global_load_dword v28, v[5:6], off
	global_load_dword v36, v[30:31], off
	;; [unrolled: 1-line block ×8, first 2 shown]
	v_mov_b32_e32 v0, v52
	v_lshlrev_b64 v[5:6], 2, v[47:48]
	v_mad_u64_u32 v[29:30], s[0:1], s21, v17, v[0:1]
	v_add_co_u32_e64 v5, s[0:1], v53, v5
	v_add_u32_e32 v17, 0x237, v7
	v_addc_co_u32_e64 v6, s[0:1], v54, v6, s[0:1]
	v_mad_u64_u32 v[39:40], s[0:1], s20, v17, 0
	v_mov_b32_e32 v52, v29
	v_lshlrev_b64 v[29:30], 2, v[51:52]
	v_mov_b32_e32 v0, v40
	v_add_co_u32_e64 v41, s[0:1], v53, v29
	v_addc_co_u32_e64 v42, s[0:1], v54, v30, s[0:1]
	v_mad_u64_u32 v[30:31], s[0:1], s21, v17, v[0:1]
	v_add_u32_e32 v31, 0x4ad, v7
	v_mad_u64_u32 v[43:44], s[0:1], s20, v31, 0
	v_mov_b32_e32 v40, v30
	global_load_dword v29, v[5:6], off
	global_load_dword v38, v[41:42], off
	v_mov_b32_e32 v0, v44
	v_mad_u64_u32 v[30:31], s[0:1], s21, v31, v[0:1]
	v_lshlrev_b64 v[5:6], 2, v[39:40]
	s_waitcnt vmcnt(16)
	v_lshrrev_b32_e32 v41, 16, v24
	v_mov_b32_e32 v44, v30
	v_add_co_u32_e64 v5, s[0:1], v53, v5
	v_lshlrev_b64 v[30:31], 2, v[43:44]
	v_addc_co_u32_e64 v6, s[0:1], v54, v6, s[0:1]
	v_add_co_u32_e64 v30, s[0:1], v53, v30
	v_addc_co_u32_e64 v31, s[0:1], v54, v31, s[0:1]
	global_load_dword v39, v[30:31], off
	global_load_dword v46, v[5:6], off
	s_waitcnt vmcnt(16)
	v_lshrrev_b32_e32 v48, 16, v23
	s_waitcnt vmcnt(14)
	v_lshrrev_b32_e32 v47, 16, v21
	;; [unrolled: 2-line block ×9, first 2 shown]
.LBB0_13:
	s_or_b64 exec, exec, s[6:7]
	v_sub_f16_e32 v5, v14, v24
	v_lshrrev_b32_e32 v0, 16, v14
	v_fma_f16 v14, v14, 2.0, -v5
	v_sub_f16_e32 v23, v22, v23
	v_fma_f16 v24, v22, 2.0, -v23
	v_sub_f16_e32 v21, v19, v21
	v_pack_b32_f16 v5, v14, v5
	v_lshl_add_u32 v49, v7, 2, 0
	v_sub_f16_e32 v6, v0, v41
	v_fma_f16 v41, v19, 2.0, -v21
	v_sub_f16_e32 v42, v18, v20
	v_sub_f16_e32 v36, v28, v36
	ds_write_b32 v49, v5
	v_pack_b32_f16 v20, v24, v23
	v_lshl_add_u32 v5, v9, 2, 0
	v_fma_f16 v43, v18, 2.0, -v42
	v_fma_f16 v14, v28, 2.0, -v36
	v_sub_f16_e32 v35, v27, v35
	ds_write_b32 v5, v20
	v_sub_f16_e32 v34, v26, v34
	v_pack_b32_f16 v21, v41, v21
	v_lshl_add_u32 v20, v8, 2, 0
	v_sub_f16_e32 v32, v25, v32
	v_fma_f16 v50, v27, 2.0, -v35
	ds_write_b32 v20, v21
	v_fma_f16 v41, v26, 2.0, -v34
	v_pack_b32_f16 v21, v43, v42
	v_lshl_add_u32 v23, v10, 2, 0
	v_fma_f16 v42, v25, 2.0, -v32
	v_sub_f16_e32 v38, v29, v38
	v_pack_b32_f16 v14, v14, v36
	v_lshl_add_u32 v24, v11, 2, 0
	v_lshrrev_b32_e32 v22, 16, v22
	ds_write_b32 v23, v21
	ds_write_b32 v24, v14
	v_fma_f16 v14, v29, 2.0, -v38
	s_waitcnt vmcnt(0)
	v_sub_f16_e32 v36, v46, v39
	v_pack_b32_f16 v35, v50, v35
	v_lshl_add_u32 v21, v12, 2, 0
	v_pack_b32_f16 v34, v41, v34
	v_lshl_add_u32 v50, v13, 2, 0
	;; [unrolled: 2-line block ×3, first 2 shown]
	v_sub_f16_e32 v48, v22, v48
	v_fma_f16 v0, v0, 2.0, -v6
	ds_write_b32 v21, v35
	v_fma_f16 v35, v46, 2.0, -v36
	ds_write_b32 v50, v34
	v_lshlrev_b32_e32 v51, 1, v7
	ds_write_b32 v52, v32
	v_pack_b32_f16 v32, v14, v38
	v_lshl_add_u32 v14, v15, 2, 0
	v_lshlrev_b32_e32 v88, 1, v10
	v_lshlrev_b32_e32 v57, 1, v13
	v_fma_f16 v22, v22, 2.0, -v48
	v_lshlrev_b32_e32 v53, 1, v9
	ds_write_b32 v14, v32
	v_lshlrev_b32_e32 v54, 1, v8
	v_pack_b32_f16 v32, v35, v36
	v_lshl_add_u32 v55, v17, 2, 0
	v_pack_b32_f16 v56, v0, v6
	v_lshlrev_b32_e32 v90, 1, v11
	v_lshlrev_b32_e32 v15, 1, v15
	;; [unrolled: 1-line block ×5, first 2 shown]
	v_sub_u32_e32 v0, v49, v51
	v_sub_u32_e32 v94, v23, v88
	v_sub_u32_e32 v61, v50, v57
	v_pack_b32_f16 v22, v22, v48
	v_lshrrev_b32_e32 v19, 16, v19
	s_load_dwordx2 s[4:5], s[4:5], 0x0
	ds_write_b32 v55, v32
	s_waitcnt lgkmcnt(0)
	; wave barrier
	s_waitcnt lgkmcnt(0)
	v_sub_u32_e32 v91, v5, v53
	v_sub_u32_e32 v93, v20, v54
	;; [unrolled: 1-line block ×4, first 2 shown]
	ds_read_u16 v80, v94
	ds_read_u16 v81, v95
	;; [unrolled: 1-line block ×4, first 2 shown]
	ds_read_u16 v42, v0 offset:1260
	ds_read_u16 v41, v0 offset:1386
	;; [unrolled: 1-line block ×7, first 2 shown]
	v_sub_u32_e32 v63, v52, v84
	v_sub_u32_e32 v64, v14, v15
	ds_read_u16 v35, v0 offset:2142
	ds_read_u16 v32, v0 offset:2268
	v_sub_u32_e32 v65, v55, v86
	ds_read_u16 v83, v61
	ds_read_u16 v85, v63
	;; [unrolled: 1-line block ×6, first 2 shown]
	ds_read_u16 v43, v0 offset:2394
	s_waitcnt lgkmcnt(0)
	; wave barrier
	s_waitcnt lgkmcnt(0)
	ds_write_b32 v49, v56
	ds_write_b32 v5, v22
	v_sub_f16_e32 v22, v19, v47
	v_fma_f16 v19, v19, 2.0, -v22
	v_pack_b32_f16 v19, v19, v22
	v_lshrrev_b32_e32 v18, 16, v18
	ds_write_b32 v20, v19
	v_sub_f16_e32 v19, v18, v45
	v_fma_f16 v18, v18, 2.0, -v19
	v_pack_b32_f16 v18, v18, v19
	ds_write_b32 v23, v18
	v_lshrrev_b32_e32 v18, 16, v28
	v_sub_f16_e32 v19, v18, v44
	v_fma_f16 v18, v18, 2.0, -v19
	v_pack_b32_f16 v18, v18, v19
	ds_write_b32 v24, v18
	v_lshrrev_b32_e32 v18, 16, v27
	;; [unrolled: 5-line block ×6, first 2 shown]
	v_sub_f16_e32 v19, v18, v30
	v_fma_f16 v18, v18, 2.0, -v19
	v_pack_b32_f16 v18, v18, v19
	ds_write_b32 v55, v18
	v_and_b32_e32 v18, 1, v7
	v_lshlrev_b32_e32 v19, 2, v18
	s_waitcnt lgkmcnt(0)
	; wave barrier
	s_waitcnt lgkmcnt(0)
	global_load_dword v22, v19, s[8:9]
	v_and_b32_e32 v19, 1, v9
	v_lshlrev_b32_e32 v25, 2, v19
	global_load_dword v58, v25, s[8:9]
	v_and_b32_e32 v28, 1, v10
	v_lshlrev_b32_e32 v25, 2, v28
	;; [unrolled: 3-line block ×3, first 2 shown]
	global_load_dword v60, v25, s[8:9]
	v_and_b32_e32 v30, 1, v16
	v_and_b32_e32 v31, 1, v17
	v_lshlrev_b32_e32 v37, 2, v30
	ds_read_u16 v33, v61
	ds_read_u16 v27, v63
	ds_read_u16 v26, v64
	ds_read_u16 v25, v65
	v_lshlrev_b32_e32 v40, 2, v31
	global_load_dword v17, v37, s[8:9]
	global_load_dword v16, v40, s[8:9]
	ds_read_u16 v70, v0 offset:1260
	ds_read_u16 v69, v0 offset:1386
	;; [unrolled: 1-line block ×7, first 2 shown]
	ds_read_u16 v63, v0
	s_movk_i32 s0, 0x7c
	v_and_or_b32 v44, v51, s0, v18
	v_lshl_add_u32 v75, v44, 1, 0
	s_movk_i32 s0, 0xfc
	v_and_or_b32 v19, v53, s0, v19
	s_movk_i32 s0, 0x1fc
	v_and_or_b32 v28, v88, s0, v28
	;; [unrolled: 2-line block ×3, first 2 shown]
	s_waitcnt vmcnt(5) lgkmcnt(7)
	v_mul_f16_sdwa v37, v70, v22 dst_sel:DWORD dst_unused:UNUSED_PAD src0_sel:DWORD src1_sel:WORD_1
	v_fma_f16 v37, v42, v22, v37
	v_sub_f16_e32 v37, v62, v37
	v_fma_f16 v40, v62, 2.0, -v37
	ds_read_u16 v64, v94
	ds_read_u16 v62, v95
	;; [unrolled: 1-line block ×3, first 2 shown]
	ds_read_u16 v76, v0 offset:2142
	ds_read_u16 v74, v0 offset:2268
	ds_read_u16 v71, v93
	ds_read_u16 v73, v91
	ds_read_u16 v77, v0 offset:2394
	s_waitcnt lgkmcnt(0)
	; wave barrier
	s_waitcnt lgkmcnt(0)
	ds_write_b16 v75, v40
	ds_write_b16 v75, v37 offset:4
	s_waitcnt vmcnt(4)
	v_mul_f16_sdwa v37, v69, v58 dst_sel:DWORD dst_unused:UNUSED_PAD src0_sel:DWORD src1_sel:WORD_1
	v_fma_f16 v37, v41, v58, v37
	v_sub_f16_e32 v37, v78, v37
	v_fma_f16 v40, v78, 2.0, -v37
	v_lshl_add_u32 v78, v19, 1, 0
	v_mul_f16_sdwa v19, v68, v22 dst_sel:DWORD dst_unused:UNUSED_PAD src0_sel:DWORD src1_sel:WORD_1
	v_fma_f16 v19, v39, v22, v19
	ds_write_b16 v78, v40
	ds_write_b16 v78, v37 offset:4
	v_sub_f16_e32 v19, v79, v19
	v_and_or_b32 v40, v54, s0, v18
	v_fma_f16 v37, v79, 2.0, -v19
	v_lshl_add_u32 v79, v40, 1, 0
	ds_write_b16 v79, v37
	ds_write_b16 v79, v19 offset:4
	s_waitcnt vmcnt(3)
	v_mul_f16_sdwa v19, v67, v59 dst_sel:DWORD dst_unused:UNUSED_PAD src0_sel:DWORD src1_sel:WORD_1
	v_fma_f16 v19, v38, v59, v19
	v_sub_f16_e32 v19, v80, v19
	v_fma_f16 v37, v80, 2.0, -v19
	v_lshl_add_u32 v80, v28, 1, 0
	ds_write_b16 v80, v37
	ds_write_b16 v80, v19 offset:4
	v_mul_f16_sdwa v19, v66, v22 dst_sel:DWORD dst_unused:UNUSED_PAD src0_sel:DWORD src1_sel:WORD_1
	v_fma_f16 v19, v36, v22, v19
	s_movk_i32 s0, 0x3fc
	v_sub_f16_e32 v19, v81, v19
	v_and_or_b32 v37, v90, s0, v18
	v_fma_f16 v28, v81, 2.0, -v19
	v_lshl_add_u32 v81, v37, 1, 0
	ds_write_b16 v81, v28
	ds_write_b16 v81, v19 offset:4
	s_waitcnt vmcnt(2)
	v_mul_f16_sdwa v19, v65, v60 dst_sel:DWORD dst_unused:UNUSED_PAD src0_sel:DWORD src1_sel:WORD_1
	v_fma_f16 v19, v34, v60, v19
	v_sub_f16_e32 v19, v82, v19
	v_fma_f16 v28, v82, 2.0, -v19
	v_lshl_add_u32 v82, v29, 1, 0
	ds_write_b16 v82, v28
	ds_write_b16 v82, v19 offset:4
	v_mul_f16_sdwa v19, v72, v22 dst_sel:DWORD dst_unused:UNUSED_PAD src0_sel:DWORD src1_sel:WORD_1
	v_fma_f16 v19, v6, v22, v19
	v_sub_f16_e32 v19, v83, v19
	v_and_or_b32 v29, v57, s0, v18
	v_fma_f16 v28, v83, 2.0, -v19
	v_lshl_add_u32 v83, v29, 1, 0
	ds_write_b16 v83, v28
	ds_write_b16 v83, v19 offset:4
	v_and_or_b32 v19, v84, s0, v30
	s_waitcnt vmcnt(1)
	v_mul_f16_sdwa v28, v76, v17 dst_sel:DWORD dst_unused:UNUSED_PAD src0_sel:DWORD src1_sel:WORD_1
	v_fma_f16 v28, v35, v17, v28
	v_lshl_add_u32 v84, v19, 1, 0
	v_mul_f16_sdwa v19, v74, v22 dst_sel:DWORD dst_unused:UNUSED_PAD src0_sel:DWORD src1_sel:WORD_1
	v_sub_f16_e32 v28, v85, v28
	v_fma_f16 v19, v32, v22, v19
	s_movk_i32 s0, 0x7fc
	v_fma_f16 v29, v85, 2.0, -v28
	v_sub_f16_e32 v19, v87, v19
	v_and_or_b32 v18, v15, s0, v18
	ds_write_b16 v84, v29
	ds_write_b16 v84, v28 offset:4
	v_fma_f16 v28, v87, 2.0, -v19
	v_lshl_add_u32 v85, v18, 1, 0
	ds_write_b16 v85, v28
	ds_write_b16 v85, v19 offset:4
	s_waitcnt vmcnt(0)
	v_mul_f16_sdwa v28, v77, v16 dst_sel:DWORD dst_unused:UNUSED_PAD src0_sel:DWORD src1_sel:WORD_1
	s_movk_i32 s0, 0x4fc
	v_fma_f16 v28, v43, v16, v28
	v_and_or_b32 v19, v86, s0, v31
	v_sub_f16_e32 v40, v89, v28
	v_sub_u32_e32 v18, 0, v57
	v_fma_f16 v28, v89, 2.0, -v40
	v_lshl_add_u32 v89, v19, 1, 0
	v_add_u32_e32 v18, v50, v18
	v_sub_u32_e32 v87, 0, v53
	ds_write_b16 v89, v28
	ds_write_b16 v89, v40 offset:4
	s_waitcnt lgkmcnt(0)
	; wave barrier
	s_waitcnt lgkmcnt(0)
	ds_read_u16 v31, v93
	ds_read_u16 v30, v94
	;; [unrolled: 1-line block ×5, first 2 shown]
	ds_read_u16 v56, v0 offset:840
	ds_read_u16 v53, v0 offset:966
	;; [unrolled: 1-line block ×11, first 2 shown]
	ds_read_u16 v44, v91
	ds_read_u16 v48, v0 offset:2310
	v_sub_u32_e32 v86, 0, v54
	v_sub_u32_e32 v91, 0, v88
	;; [unrolled: 1-line block ×4, first 2 shown]
	v_cmp_gt_u32_e64 s[0:1], 42, v7
                                        ; implicit-def: $vgpr54
	s_and_saveexec_b64 s[6:7], s[0:1]
	s_cbranch_execz .LBB0_15
; %bb.14:
	ds_read_u16 v40, v0 offset:1596
	ds_read_u16 v28, v18
	ds_read_u16 v54, v0 offset:2436
.LBB0_15:
	s_or_b64 exec, exec, s[6:7]
	v_mul_f16_sdwa v42, v42, v22 dst_sel:DWORD dst_unused:UNUSED_PAD src0_sel:DWORD src1_sel:WORD_1
	v_mul_f16_sdwa v39, v39, v22 dst_sel:DWORD dst_unused:UNUSED_PAD src0_sel:DWORD src1_sel:WORD_1
	;; [unrolled: 1-line block ×5, first 2 shown]
	v_fma_f16 v42, v70, v22, -v42
	v_mul_f16_sdwa v41, v41, v58 dst_sel:DWORD dst_unused:UNUSED_PAD src0_sel:DWORD src1_sel:WORD_1
	v_fma_f16 v39, v68, v22, -v39
	v_mul_f16_sdwa v38, v38, v59 dst_sel:DWORD dst_unused:UNUSED_PAD src0_sel:DWORD src1_sel:WORD_1
	;; [unrolled: 2-line block ×5, first 2 shown]
	v_fma_f16 v41, v69, v58, -v41
	v_fma_f16 v38, v67, v59, -v38
	;; [unrolled: 1-line block ×5, first 2 shown]
	v_sub_f16_e32 v32, v63, v42
	v_sub_f16_e32 v36, v62, v36
	v_fma_f16 v35, v63, 2.0, -v32
	v_sub_f16_e32 v41, v73, v41
	v_sub_f16_e32 v39, v71, v39
	;; [unrolled: 1-line block ×3, first 2 shown]
	v_fma_f16 v59, v62, 2.0, -v36
	v_sub_f16_e32 v60, v61, v34
	v_sub_f16_e32 v6, v33, v6
	;; [unrolled: 1-line block ×5, first 2 shown]
	v_fma_f16 v42, v73, 2.0, -v41
	v_fma_f16 v43, v71, 2.0, -v39
	;; [unrolled: 1-line block ×8, first 2 shown]
	s_waitcnt lgkmcnt(0)
	; wave barrier
	s_waitcnt lgkmcnt(0)
	ds_write_b16 v75, v35
	ds_write_b16 v75, v32 offset:4
	ds_write_b16 v78, v42
	ds_write_b16 v78, v41 offset:4
	;; [unrolled: 2-line block ×10, first 2 shown]
	v_add_u32_e32 v6, v5, v87
	v_add_u32_e32 v5, v20, v86
	s_waitcnt lgkmcnt(0)
	; wave barrier
	s_waitcnt lgkmcnt(0)
	v_add_u32_e32 v16, v23, v91
	ds_read_u16 v26, v5
	ds_read_u16 v20, v16
	v_add_u32_e32 v17, v24, v90
	ds_read_u16 v32, v0
	ds_read_u16 v59, v0 offset:840
	ds_read_u16 v43, v0 offset:966
	;; [unrolled: 1-line block ×9, first 2 shown]
	v_add_u32_e32 v21, v21, v88
	ds_read_u16 v27, v17
	ds_read_u16 v25, v21
	ds_read_u16 v61, v0 offset:1680
	ds_read_u16 v41, v0 offset:1470
	ds_read_u16 v33, v6
	ds_read_u16 v42, v0 offset:2310
                                        ; implicit-def: $vgpr77
	s_and_saveexec_b64 s[6:7], s[0:1]
	s_cbranch_execz .LBB0_17
; %bb.16:
	ds_read_u16 v34, v0 offset:1596
	ds_read_u16 v22, v18
	ds_read_u16 v77, v0 offset:2436
.LBB0_17:
	s_or_b64 exec, exec, s[6:7]
	v_and_b32_e32 v86, 3, v7
	v_lshlrev_b32_e32 v36, 3, v86
	v_and_b32_e32 v87, 3, v9
	global_load_dwordx2 v[78:79], v36, s[8:9] offset:8
	v_lshlrev_b32_e32 v36, 3, v87
	v_and_b32_e32 v88, 3, v8
	global_load_dwordx2 v[62:63], v36, s[8:9] offset:8
	;; [unrolled: 3-line block ×4, first 2 shown]
	v_lshlrev_b32_e32 v36, 3, v90
	global_load_dwordx2 v[82:83], v36, s[8:9] offset:8
	v_and_b32_e32 v36, 3, v13
	v_lshlrev_b32_e32 v64, 3, v36
	global_load_dwordx2 v[84:85], v64, s[8:9] offset:8
	s_mov_b32 s6, 0xbaee
	s_movk_i32 s7, 0x3aee
	s_waitcnt lgkmcnt(0)
	; wave barrier
	s_waitcnt vmcnt(5) lgkmcnt(0)
	v_mul_f16_sdwa v64, v59, v78 dst_sel:DWORD dst_unused:UNUSED_PAD src0_sel:DWORD src1_sel:WORD_1
	v_mul_f16_sdwa v68, v61, v79 dst_sel:DWORD dst_unused:UNUSED_PAD src0_sel:DWORD src1_sel:WORD_1
	;; [unrolled: 1-line block ×4, first 2 shown]
	s_waitcnt vmcnt(4)
	v_mul_f16_sdwa v70, v43, v62 dst_sel:DWORD dst_unused:UNUSED_PAD src0_sel:DWORD src1_sel:WORD_1
	v_mul_f16_sdwa v73, v60, v63 dst_sel:DWORD dst_unused:UNUSED_PAD src0_sel:DWORD src1_sel:WORD_1
	;; [unrolled: 1-line block ×4, first 2 shown]
	v_fma_f16 v72, v56, v78, v64
	s_waitcnt vmcnt(2)
	v_mul_f16_sdwa v97, v49, v80 dst_sel:DWORD dst_unused:UNUSED_PAD src0_sel:DWORD src1_sel:WORD_1
	v_fma_f16 v74, v57, v79, v68
	v_mul_f16_sdwa v71, v53, v62 dst_sel:DWORD dst_unused:UNUSED_PAD src0_sel:DWORD src1_sel:WORD_1
	v_mul_f16_sdwa v92, v38, v65 dst_sel:DWORD dst_unused:UNUSED_PAD src0_sel:DWORD src1_sel:WORD_1
	;; [unrolled: 1-line block ×8, first 2 shown]
	s_waitcnt vmcnt(0)
	v_mul_f16_sdwa v109, v40, v84 dst_sel:DWORD dst_unused:UNUSED_PAD src0_sel:DWORD src1_sel:WORD_1
	v_fma_f16 v75, v59, v78, -v67
	v_fma_f16 v76, v61, v79, -v69
	v_fma_f16 v67, v53, v62, v70
	v_fma_f16 v69, v55, v63, v73
	v_fma_f16 v73, v60, v63, -v91
	v_fma_f16 v64, v24, v80, -v97
	;; [unrolled: 1-line block ×3, first 2 shown]
	v_add_f16_e32 v23, v37, v72
	v_add_f16_e32 v24, v72, v74
	v_mul_f16_sdwa v98, v39, v81 dst_sel:DWORD dst_unused:UNUSED_PAD src0_sel:DWORD src1_sel:WORD_1
	v_mul_f16_sdwa v108, v34, v84 dst_sel:DWORD dst_unused:UNUSED_PAD src0_sel:DWORD src1_sel:WORD_1
	v_fma_f16 v71, v43, v62, -v71
	v_fma_f16 v63, v51, v65, v92
	v_fma_f16 v68, v38, v65, -v93
	v_fma_f16 v65, v52, v66, v94
	v_fma_f16 v70, v58, v66, -v95
	v_fma_f16 v66, v39, v81, -v99
	;; [unrolled: 1-line block ×3, first 2 shown]
	v_sub_f16_e32 v34, v75, v76
	v_add_f16_e32 v38, v67, v69
	v_add_f16_e32 v39, v23, v74
	v_fma_f16 v23, v24, -0.5, v37
	v_fma_f16 v24, v38, -0.5, v44
	v_fma_f16 v37, v34, s6, v23
	v_fma_f16 v34, v34, s7, v23
	v_sub_f16_e32 v23, v71, v73
	v_mul_f16_sdwa v105, v47, v82 dst_sel:DWORD dst_unused:UNUSED_PAD src0_sel:DWORD src1_sel:WORD_1
	v_fma_f16 v59, v49, v80, v96
	v_fma_f16 v49, v40, v84, v108
	;; [unrolled: 1-line block ×4, first 2 shown]
	v_add_f16_e32 v23, v31, v63
	v_mul_f16_sdwa v104, v41, v82 dst_sel:DWORD dst_unused:UNUSED_PAD src0_sel:DWORD src1_sel:WORD_1
	v_fma_f16 v56, v41, v82, -v105
	v_add_f16_e32 v41, v23, v65
	v_add_f16_e32 v23, v63, v65
	v_mul_f16_sdwa v107, v48, v83 dst_sel:DWORD dst_unused:UNUSED_PAD src0_sel:DWORD src1_sel:WORD_1
	v_fma_f16 v23, v23, -0.5, v31
	v_sub_f16_e32 v24, v68, v70
	v_mul_f16_sdwa v106, v42, v83 dst_sel:DWORD dst_unused:UNUSED_PAD src0_sel:DWORD src1_sel:WORD_1
	v_fma_f16 v61, v50, v81, v98
	v_fma_f16 v58, v42, v83, -v107
	v_fma_f16 v31, v24, s6, v23
	v_fma_f16 v42, v24, s7, v23
	v_add_f16_e32 v23, v30, v59
	v_add_f16_e32 v43, v23, v61
	;; [unrolled: 1-line block ×3, first 2 shown]
	v_mul_f16_sdwa v102, v35, v79 dst_sel:DWORD dst_unused:UNUSED_PAD src0_sel:DWORD src1_sel:WORD_1
	v_mul_f16_sdwa v103, v46, v79 dst_sel:DWORD dst_unused:UNUSED_PAD src0_sel:DWORD src1_sel:WORD_1
	v_fma_f16 v55, v45, v78, v100
	v_fma_f16 v23, v23, -0.5, v30
	v_sub_f16_e32 v24, v64, v66
	v_fma_f16 v57, v46, v79, v102
	v_fma_f16 v62, v35, v79, -v103
	v_add_f16_e32 v35, v44, v67
	v_fma_f16 v30, v24, s6, v23
	v_fma_f16 v44, v24, s7, v23
	v_add_f16_e32 v23, v29, v55
	v_add_f16_e32 v45, v23, v57
	;; [unrolled: 1-line block ×3, first 2 shown]
	v_fma_f16 v51, v47, v82, v104
	v_fma_f16 v23, v23, -0.5, v29
	v_sub_f16_e32 v24, v60, v62
	v_fma_f16 v53, v48, v83, v106
	v_fma_f16 v29, v24, s6, v23
	;; [unrolled: 1-line block ×3, first 2 shown]
	v_add_f16_e32 v23, v19, v51
	v_mul_f16_sdwa v110, v77, v85 dst_sel:DWORD dst_unused:UNUSED_PAD src0_sel:DWORD src1_sel:WORD_1
	v_add_f16_e32 v47, v23, v53
	v_add_f16_e32 v23, v51, v53
	v_mul_f16_sdwa v111, v54, v85 dst_sel:DWORD dst_unused:UNUSED_PAD src0_sel:DWORD src1_sel:WORD_1
	v_fma_f16 v50, v54, v85, v110
	v_fma_f16 v19, v23, -0.5, v19
	v_sub_f16_e32 v23, v56, v58
	v_fma_f16 v54, v77, v85, -v111
	v_fma_f16 v48, v23, s6, v19
	v_fma_f16 v82, v23, s7, v19
	v_add_f16_e32 v23, v49, v50
	v_add_f16_e32 v19, v28, v49
	v_fma_f16 v23, v23, -0.5, v28
	v_sub_f16_e32 v28, v52, v54
	v_fma_f16 v24, v28, s6, v23
	v_fma_f16 v23, v28, s7, v23
	v_lshrrev_b32_e32 v28, 2, v7
	v_mul_u32_u24_e32 v28, 12, v28
	v_or_b32_e32 v28, v28, v86
	v_lshl_add_u32 v77, v28, 1, 0
	v_lshrrev_b32_e32 v28, 2, v9
	v_mul_lo_u32 v28, v28, 12
	v_add_f16_e32 v35, v35, v69
	v_add_f16_e32 v19, v19, v50
	ds_write_b16 v77, v39
	ds_write_b16 v77, v37 offset:8
	ds_write_b16 v77, v34 offset:16
	v_or_b32_e32 v28, v28, v87
	v_lshl_add_u32 v78, v28, 1, 0
	v_lshrrev_b32_e32 v28, 2, v8
	v_mul_lo_u32 v28, v28, 12
	ds_write_b16 v78, v35
	ds_write_b16 v78, v38 offset:8
	ds_write_b16 v78, v40 offset:16
	v_or_b32_e32 v28, v28, v88
	v_lshl_add_u32 v79, v28, 1, 0
	v_lshrrev_b32_e32 v28, 2, v10
	v_mul_lo_u32 v28, v28, 12
	ds_write_b16 v79, v41
	ds_write_b16 v79, v31 offset:8
	ds_write_b16 v79, v42 offset:16
	v_or_b32_e32 v28, v28, v89
	v_lshl_add_u32 v80, v28, 1, 0
	v_lshrrev_b32_e32 v28, 2, v11
	v_mul_lo_u32 v28, v28, 12
	ds_write_b16 v80, v43
	ds_write_b16 v80, v30 offset:8
	ds_write_b16 v80, v44 offset:16
	v_or_b32_e32 v28, v28, v86
	v_lshl_add_u32 v81, v28, 1, 0
	v_lshrrev_b32_e32 v28, 2, v12
	v_mul_lo_u32 v28, v28, 12
	ds_write_b16 v81, v45
	ds_write_b16 v81, v29 offset:8
	ds_write_b16 v81, v46 offset:16
	v_or_b32_e32 v28, v28, v90
	v_lshl_add_u32 v83, v28, 1, 0
	ds_write_b16 v83, v47
	ds_write_b16 v83, v48 offset:8
	ds_write_b16 v83, v82 offset:16
	v_lshrrev_b32_e32 v82, 2, v13
	s_and_saveexec_b64 s[6:7], s[0:1]
	s_cbranch_execz .LBB0_19
; %bb.18:
	v_mul_lo_u32 v28, v82, 12
	v_or_b32_e32 v28, v28, v36
	v_lshl_add_u32 v28, v28, 1, 0
	ds_write_b16 v28, v19
	ds_write_b16 v28, v24 offset:8
	ds_write_b16 v28, v23 offset:16
.LBB0_19:
	s_or_b64 exec, exec, s[6:7]
	s_waitcnt lgkmcnt(0)
	; wave barrier
	s_waitcnt lgkmcnt(0)
	ds_read_u16 v30, v5
	ds_read_u16 v28, v16
	;; [unrolled: 1-line block ×3, first 2 shown]
	ds_read_u16 v46, v0 offset:840
	ds_read_u16 v44, v0 offset:966
	;; [unrolled: 1-line block ×9, first 2 shown]
	ds_read_u16 v31, v17
	ds_read_u16 v29, v21
	ds_read_u16 v48, v0 offset:1680
	ds_read_u16 v38, v0 offset:1470
	ds_read_u16 v35, v6
	ds_read_u16 v37, v0 offset:2310
	s_and_saveexec_b64 s[6:7], s[0:1]
	s_cbranch_execz .LBB0_21
; %bb.20:
	ds_read_u16 v24, v0 offset:1596
	ds_read_u16 v19, v18
	ds_read_u16 v23, v0 offset:2436
.LBB0_21:
	s_or_b64 exec, exec, s[6:7]
	v_add_f16_e32 v84, v32, v75
	v_add_f16_e32 v75, v75, v76
	v_fma_f16 v32, v75, -0.5, v32
	v_sub_f16_e32 v72, v72, v74
	s_movk_i32 s6, 0x3aee
	s_mov_b32 s7, 0xbaee
	v_fma_f16 v74, v72, s6, v32
	v_fma_f16 v32, v72, s7, v32
	v_add_f16_e32 v72, v33, v71
	v_add_f16_e32 v71, v71, v73
	v_fma_f16 v33, v71, -0.5, v33
	v_sub_f16_e32 v67, v67, v69
	v_fma_f16 v69, v67, s6, v33
	v_fma_f16 v67, v67, s7, v33
	v_add_f16_e32 v33, v26, v68
	v_add_f16_e32 v71, v33, v70
	v_add_f16_e32 v33, v68, v70
	v_fma_f16 v26, v33, -0.5, v26
	v_sub_f16_e32 v33, v63, v65
	v_fma_f16 v63, v33, s6, v26
	v_fma_f16 v26, v33, s7, v26
	v_add_f16_e32 v33, v20, v64
	;; [unrolled: 7-line block ×4, first 2 shown]
	v_add_f16_e32 v57, v20, v58
	v_add_f16_e32 v20, v56, v58
	v_fma_f16 v20, v20, -0.5, v25
	v_sub_f16_e32 v25, v51, v53
	v_add_f16_e32 v33, v52, v54
	v_fma_f16 v51, v25, s6, v20
	v_fma_f16 v25, v25, s7, v20
	v_add_f16_e32 v20, v22, v52
	v_fma_f16 v22, v33, -0.5, v22
	v_sub_f16_e32 v33, v49, v50
	v_add_f16_e32 v84, v84, v76
	v_add_f16_e32 v20, v20, v54
	v_fma_f16 v49, v33, s6, v22
	v_fma_f16 v33, v33, s7, v22
	v_add_f16_e32 v72, v72, v73
	s_waitcnt lgkmcnt(0)
	; wave barrier
	s_waitcnt lgkmcnt(0)
	ds_write_b16 v77, v84
	ds_write_b16 v77, v74 offset:8
	ds_write_b16 v77, v32 offset:16
	ds_write_b16 v78, v72
	ds_write_b16 v78, v69 offset:8
	ds_write_b16 v78, v67 offset:16
	;; [unrolled: 3-line block ×6, first 2 shown]
	s_and_saveexec_b64 s[6:7], s[0:1]
	s_cbranch_execz .LBB0_23
; %bb.22:
	v_mul_lo_u32 v22, v82, 12
	v_or_b32_e32 v22, v22, v36
	v_lshl_add_u32 v22, v22, 1, 0
	ds_write_b16 v22, v20
	ds_write_b16 v22, v49 offset:8
	ds_write_b16 v22, v33 offset:16
.LBB0_23:
	s_or_b64 exec, exec, s[6:7]
	s_waitcnt lgkmcnt(0)
	; wave barrier
	s_waitcnt lgkmcnt(0)
	ds_read_u16 v25, v5
	ds_read_u16 v22, v16
	;; [unrolled: 1-line block ×3, first 2 shown]
	ds_read_u16 v58, v0 offset:840
	ds_read_u16 v56, v0 offset:966
	;; [unrolled: 1-line block ×9, first 2 shown]
	ds_read_u16 v26, v17
	ds_read_u16 v21, v21
	ds_read_u16 v60, v0 offset:1680
	ds_read_u16 v50, v0 offset:1470
	ds_read_u16 v32, v6
	ds_read_u16 v36, v0 offset:2310
	s_and_saveexec_b64 s[6:7], s[0:1]
	s_cbranch_execz .LBB0_25
; %bb.24:
	ds_read_u16 v49, v0 offset:1596
	ds_read_u16 v20, v18
	ds_read_u16 v33, v0 offset:2436
.LBB0_25:
	s_or_b64 exec, exec, s[6:7]
	s_movk_i32 s6, 0xab
	v_mul_lo_u16_sdwa v63, v9, s6 dst_sel:DWORD dst_unused:UNUSED_PAD src0_sel:BYTE_0 src1_sel:DWORD
	v_lshrrev_b16_e32 v78, 11, v63
	v_mul_lo_u16_sdwa v18, v7, s6 dst_sel:DWORD dst_unused:UNUSED_PAD src0_sel:BYTE_0 src1_sel:DWORD
	v_mul_lo_u16_e32 v63, 12, v78
	v_lshrrev_b16_e32 v77, 11, v18
	v_sub_u16_e32 v79, v9, v63
	v_mul_lo_u16_sdwa v63, v8, s6 dst_sel:DWORD dst_unused:UNUSED_PAD src0_sel:BYTE_0 src1_sel:DWORD
	v_mul_lo_u16_sdwa v66, v10, s6 dst_sel:DWORD dst_unused:UNUSED_PAD src0_sel:BYTE_0 src1_sel:DWORD
	v_mul_lo_u16_e32 v18, 12, v77
	v_lshrrev_b16_e32 v80, 11, v63
	v_lshrrev_b16_e32 v82, 11, v66
	v_sub_u16_e32 v18, v7, v18
	v_mov_b32_e32 v61, 3
	v_mul_lo_u16_e32 v63, 12, v80
	v_mul_lo_u16_e32 v67, 12, v82
	v_lshlrev_b32_sdwa v62, v61, v18 dst_sel:DWORD dst_unused:UNUSED_PAD src0_sel:DWORD src1_sel:BYTE_0
	v_lshlrev_b32_sdwa v65, v61, v79 dst_sel:DWORD dst_unused:UNUSED_PAD src0_sel:DWORD src1_sel:BYTE_0
	v_sub_u16_e32 v81, v8, v63
	v_sub_u16_e32 v83, v10, v67
	global_load_dwordx2 v[63:64], v62, s[8:9] offset:40
	s_mov_b32 s6, 0xaaab
	global_load_dwordx2 v[65:66], v65, s[8:9] offset:40
	v_lshlrev_b32_sdwa v62, v61, v81 dst_sel:DWORD dst_unused:UNUSED_PAD src0_sel:DWORD src1_sel:BYTE_0
	v_lshlrev_b32_sdwa v61, v61, v83 dst_sel:DWORD dst_unused:UNUSED_PAD src0_sel:DWORD src1_sel:BYTE_0
	global_load_dwordx2 v[67:68], v62, s[8:9] offset:40
	global_load_dwordx2 v[69:70], v61, s[8:9] offset:40
	v_mul_u32_u24_sdwa v61, v11, s6 dst_sel:DWORD dst_unused:UNUSED_PAD src0_sel:WORD_0 src1_sel:DWORD
	v_lshrrev_b32_e32 v84, 19, v61
	v_mul_lo_u16_e32 v61, 12, v84
	v_sub_u16_e32 v11, v11, v61
	v_lshlrev_b32_e32 v61, 3, v11
	global_load_dwordx2 v[71:72], v61, s[8:9] offset:40
	v_mul_u32_u24_sdwa v61, v12, s6 dst_sel:DWORD dst_unused:UNUSED_PAD src0_sel:WORD_0 src1_sel:DWORD
	v_lshrrev_b32_e32 v85, 19, v61
	v_mul_lo_u16_e32 v61, 12, v85
	v_sub_u16_e32 v86, v12, v61
	v_lshlrev_b32_e32 v12, 3, v86
	;; [unrolled: 6-line block ×3, first 2 shown]
	global_load_dwordx2 v[75:76], v12, s[8:9] offset:40
	v_mov_b32_e32 v12, 1
	v_lshlrev_b32_e32 v90, 1, v11
	v_lshlrev_b32_sdwa v89, v12, v18 dst_sel:DWORD dst_unused:UNUSED_PAD src0_sel:DWORD src1_sel:BYTE_0
	v_sub_u32_e32 v13, 0, v15
	v_lshlrev_b32_sdwa v79, v12, v79 dst_sel:DWORD dst_unused:UNUSED_PAD src0_sel:DWORD src1_sel:BYTE_0
	v_lshlrev_b32_sdwa v81, v12, v81 dst_sel:DWORD dst_unused:UNUSED_PAD src0_sel:DWORD src1_sel:BYTE_0
	;; [unrolled: 1-line block ×3, first 2 shown]
	s_mov_b32 s10, 0xbaee
	s_movk_i32 s11, 0x3aee
	s_waitcnt lgkmcnt(0)
	; wave barrier
	s_waitcnt vmcnt(6) lgkmcnt(0)
	v_mul_f16_sdwa v11, v58, v63 dst_sel:DWORD dst_unused:UNUSED_PAD src0_sel:DWORD src1_sel:WORD_1
	v_mul_f16_sdwa v18, v48, v64 dst_sel:DWORD dst_unused:UNUSED_PAD src0_sel:DWORD src1_sel:WORD_1
	v_fma_f16 v61, v46, v63, v11
	v_mul_f16_sdwa v15, v60, v64 dst_sel:DWORD dst_unused:UNUSED_PAD src0_sel:DWORD src1_sel:WORD_1
	s_waitcnt vmcnt(5)
	v_mul_f16_sdwa v91, v56, v65 dst_sel:DWORD dst_unused:UNUSED_PAD src0_sel:DWORD src1_sel:WORD_1
	s_waitcnt vmcnt(3)
	v_mul_f16_sdwa v99, v53, v69 dst_sel:DWORD dst_unused:UNUSED_PAD src0_sel:DWORD src1_sel:WORD_1
	v_mul_f16_sdwa v95, v54, v67 dst_sel:DWORD dst_unused:UNUSED_PAD src0_sel:DWORD src1_sel:WORD_1
	;; [unrolled: 1-line block ×4, first 2 shown]
	v_fma_f16 v60, v60, v64, -v18
	v_fma_f16 v18, v41, v69, v99
	s_waitcnt vmcnt(2)
	v_mul_f16_sdwa v11, v52, v72 dst_sel:DWORD dst_unused:UNUSED_PAD src0_sel:DWORD src1_sel:WORD_1
	v_fma_f16 v41, v40, v72, v11
	v_mul_f16_sdwa v11, v40, v72 dst_sel:DWORD dst_unused:UNUSED_PAD src0_sel:DWORD src1_sel:WORD_1
	v_mul_f16_sdwa v92, v44, v65 dst_sel:DWORD dst_unused:UNUSED_PAD src0_sel:DWORD src1_sel:WORD_1
	;; [unrolled: 1-line block ×4, first 2 shown]
	v_fma_f16 v62, v48, v64, v15
	v_fma_f16 v48, v44, v65, v91
	v_fma_f16 v44, v42, v67, v95
	v_fma_f16 v42, v43, v70, v101
	v_fma_f16 v43, v52, v72, -v11
	s_waitcnt vmcnt(1)
	v_mul_f16_sdwa v11, v50, v73 dst_sel:DWORD dst_unused:UNUSED_PAD src0_sel:DWORD src1_sel:WORD_1
	v_fma_f16 v15, v38, v73, v11
	v_mul_f16_sdwa v11, v38, v73 dst_sel:DWORD dst_unused:UNUSED_PAD src0_sel:DWORD src1_sel:WORD_1
	v_fma_f16 v38, v50, v73, -v11
	v_mul_f16_sdwa v11, v36, v74 dst_sel:DWORD dst_unused:UNUSED_PAD src0_sel:DWORD src1_sel:WORD_1
	v_fma_f16 v40, v37, v74, v11
	v_mul_f16_sdwa v11, v37, v74 dst_sel:DWORD dst_unused:UNUSED_PAD src0_sel:DWORD src1_sel:WORD_1
	v_fma_f16 v50, v36, v74, -v11
	s_waitcnt vmcnt(0)
	v_mul_f16_sdwa v11, v49, v75 dst_sel:DWORD dst_unused:UNUSED_PAD src0_sel:DWORD src1_sel:WORD_1
	v_fma_f16 v37, v24, v75, v11
	v_mul_f16_sdwa v11, v24, v75 dst_sel:DWORD dst_unused:UNUSED_PAD src0_sel:DWORD src1_sel:WORD_1
	v_fma_f16 v36, v49, v75, -v11
	v_mul_f16_sdwa v11, v33, v76 dst_sel:DWORD dst_unused:UNUSED_PAD src0_sel:DWORD src1_sel:WORD_1
	v_fma_f16 v24, v23, v76, v11
	v_mul_f16_sdwa v11, v23, v76 dst_sel:DWORD dst_unused:UNUSED_PAD src0_sel:DWORD src1_sel:WORD_1
	v_mul_f16_sdwa v12, v46, v63 dst_sel:DWORD dst_unused:UNUSED_PAD src0_sel:DWORD src1_sel:WORD_1
	;; [unrolled: 1-line block ×4, first 2 shown]
	v_fma_f16 v33, v33, v76, -v11
	v_add_f16_e32 v11, v34, v61
	v_fma_f16 v63, v58, v63, -v12
	v_fma_f16 v12, v39, v71, v103
	v_fma_f16 v39, v51, v71, -v104
	v_add_f16_e32 v51, v11, v62
	v_add_f16_e32 v11, v61, v62
	v_mul_f16_sdwa v93, v59, v66 dst_sel:DWORD dst_unused:UNUSED_PAD src0_sel:DWORD src1_sel:WORD_1
	v_mul_f16_sdwa v97, v57, v68 dst_sel:DWORD dst_unused:UNUSED_PAD src0_sel:DWORD src1_sel:WORD_1
	v_fma_f16 v11, v11, -0.5, v34
	v_sub_f16_e32 v23, v63, v60
	v_mul_f16_sdwa v94, v47, v66 dst_sel:DWORD dst_unused:UNUSED_PAD src0_sel:DWORD src1_sel:WORD_1
	v_mul_f16_sdwa v98, v45, v68 dst_sel:DWORD dst_unused:UNUSED_PAD src0_sel:DWORD src1_sel:WORD_1
	v_fma_f16 v58, v56, v65, -v92
	v_fma_f16 v56, v47, v66, v93
	v_fma_f16 v46, v45, v68, v97
	v_fma_f16 v45, v53, v69, -v100
	v_fma_f16 v34, v23, s10, v11
	v_fma_f16 v53, v23, s11, v11
	v_add_f16_e32 v11, v35, v48
	v_fma_f16 v59, v59, v66, -v94
	v_fma_f16 v47, v55, v70, -v102
	v_add_f16_e32 v55, v11, v56
	v_add_f16_e32 v11, v48, v56
	v_fma_f16 v11, v11, -0.5, v35
	v_sub_f16_e32 v23, v58, v59
	v_fma_f16 v35, v23, s10, v11
	v_fma_f16 v64, v23, s11, v11
	v_add_f16_e32 v11, v30, v44
	v_fma_f16 v54, v54, v67, -v96
	v_fma_f16 v57, v57, v68, -v98
	v_add_f16_e32 v65, v11, v46
	v_add_f16_e32 v11, v44, v46
	v_fma_f16 v11, v11, -0.5, v30
	v_sub_f16_e32 v23, v54, v57
	v_fma_f16 v30, v23, s10, v11
	v_fma_f16 v66, v23, s11, v11
	v_add_f16_e32 v11, v28, v18
	v_add_f16_e32 v67, v11, v42
	;; [unrolled: 1-line block ×3, first 2 shown]
	v_fma_f16 v11, v11, -0.5, v28
	v_sub_f16_e32 v23, v45, v47
	v_fma_f16 v68, v23, s10, v11
	v_fma_f16 v69, v23, s11, v11
	v_add_f16_e32 v11, v31, v12
	v_mul_u32_u24_e32 v49, 0x48, v77
	v_add_f16_e32 v70, v11, v41
	v_add_f16_e32 v11, v12, v41
	v_add3_u32 v49, 0, v49, v89
	v_fma_f16 v11, v11, -0.5, v31
	v_sub_f16_e32 v23, v39, v43
	ds_write_b16 v49, v51
	ds_write_b16 v49, v34 offset:24
	ds_write_b16 v49, v53 offset:48
	v_mul_u32_u24_e32 v34, 0x48, v78
	v_fma_f16 v31, v23, s10, v11
	v_fma_f16 v71, v23, s11, v11
	v_add_f16_e32 v11, v29, v15
	v_add3_u32 v51, 0, v34, v79
	v_mul_u32_u24_e32 v34, 0x48, v80
	v_add_f16_e32 v72, v11, v40
	v_add_f16_e32 v11, v15, v40
	ds_write_b16 v51, v55
	ds_write_b16 v51, v35 offset:24
	ds_write_b16 v51, v64 offset:48
	v_add3_u32 v55, 0, v34, v81
	v_fma_f16 v11, v11, -0.5, v29
	v_sub_f16_e32 v23, v38, v50
	ds_write_b16 v55, v65
	ds_write_b16 v55, v30 offset:24
	ds_write_b16 v55, v66 offset:48
	v_mul_u32_u24_e32 v30, 0x48, v82
	v_fma_f16 v29, v23, s10, v11
	v_fma_f16 v73, v23, s11, v11
	v_add_f16_e32 v11, v37, v24
	v_add3_u32 v64, 0, v30, v83
	v_mul_u32_u24_e32 v30, 0x48, v84
	v_lshlrev_b32_e32 v52, 1, v86
	v_fma_f16 v23, v11, -0.5, v19
	v_sub_f16_e32 v28, v36, v33
	v_add3_u32 v65, 0, v30, v90
	v_mul_u32_u24_e32 v30, 0x48, v85
	v_fma_f16 v11, v28, s11, v23
	v_add3_u32 v66, 0, v30, v52
	v_mul_lo_u16_e32 v52, 36, v87
	v_lshlrev_b32_e32 v53, 1, v88
	ds_write_b16 v64, v67
	ds_write_b16 v64, v68 offset:24
	ds_write_b16 v64, v69 offset:48
	ds_write_b16 v65, v70
	ds_write_b16 v65, v31 offset:24
	ds_write_b16 v65, v71 offset:48
	;; [unrolled: 3-line block ×3, first 2 shown]
	s_and_saveexec_b64 s[6:7], s[0:1]
	s_cbranch_execz .LBB0_27
; %bb.26:
	v_mul_f16_e32 v28, 0x3aee, v28
	v_sub_f16_e32 v23, v23, v28
	v_add_f16_e32 v19, v19, v37
	v_lshlrev_b32_e32 v28, 1, v52
	v_add_f16_e32 v19, v19, v24
	v_add3_u32 v28, 0, v53, v28
	ds_write_b16 v28, v19
	ds_write_b16 v28, v23 offset:24
	ds_write_b16 v28, v11 offset:48
.LBB0_27:
	s_or_b64 exec, exec, s[6:7]
	v_add_f16_e32 v19, v27, v63
	v_add_f16_e32 v67, v19, v60
	v_add_f16_e32 v19, v63, v60
	v_fma_f16 v19, v19, -0.5, v27
	v_sub_f16_e32 v23, v61, v62
	v_fma_f16 v60, v23, s11, v19
	v_fma_f16 v61, v23, s10, v19
	v_add_f16_e32 v19, v32, v58
	v_add_f16_e32 v62, v19, v59
	v_add_f16_e32 v19, v58, v59
	v_fma_f16 v19, v19, -0.5, v32
	v_sub_f16_e32 v23, v48, v56
	v_fma_f16 v48, v23, s11, v19
	v_fma_f16 v56, v23, s10, v19
	;; [unrolled: 7-line block ×5, first 2 shown]
	v_add_f16_e32 v12, v21, v38
	v_add_f16_e32 v57, v12, v50
	;; [unrolled: 1-line block ×3, first 2 shown]
	v_fma_f16 v12, v12, -0.5, v21
	v_sub_f16_e32 v15, v15, v40
	v_add_u32_e32 v19, v14, v13
	v_fma_f16 v50, v15, s11, v12
	v_fma_f16 v59, v15, s10, v12
	v_sub_f16_e32 v40, v37, v24
	s_waitcnt lgkmcnt(0)
	; wave barrier
	s_waitcnt lgkmcnt(0)
	ds_read_u16 v30, v19
	ds_read_u16 v13, v5
	;; [unrolled: 1-line block ×3, first 2 shown]
	ds_read_u16 v34, v0 offset:630
	ds_read_u16 v21, v0 offset:756
	;; [unrolled: 1-line block ×7, first 2 shown]
	ds_read_u16 v38, v17
	ds_read_u16 v18, v16
	ds_read_u16 v37, v0 offset:1512
	ds_read_u16 v25, v0 offset:1386
	;; [unrolled: 1-line block ×4, first 2 shown]
	ds_read_u16 v14, v6
	ds_read_u16 v24, v0 offset:2394
	ds_read_u16 v39, v0 offset:2016
	;; [unrolled: 1-line block ×3, first 2 shown]
	v_add_f16_e32 v12, v36, v33
	v_fma_f16 v22, v12, -0.5, v20
	v_fma_f16 v12, v40, s10, v22
	s_waitcnt lgkmcnt(0)
	; wave barrier
	s_waitcnt lgkmcnt(0)
	ds_write_b16 v49, v67
	ds_write_b16 v49, v60 offset:24
	ds_write_b16 v49, v61 offset:48
	ds_write_b16 v51, v62
	ds_write_b16 v51, v48 offset:24
	ds_write_b16 v51, v56 offset:48
	;; [unrolled: 3-line block ×6, first 2 shown]
	s_and_saveexec_b64 s[6:7], s[0:1]
	s_cbranch_execz .LBB0_29
; %bb.28:
	v_add_f16_e32 v20, v20, v36
	v_add_f16_e32 v20, v20, v33
	v_lshlrev_b32_e32 v33, 1, v52
	v_mul_f16_e32 v40, 0x3aee, v40
	v_add3_u32 v33, 0, v53, v33
	v_add_f16_e32 v22, v40, v22
	ds_write_b16 v33, v20
	ds_write_b16 v33, v22 offset:24
	ds_write_b16 v33, v12 offset:48
.LBB0_29:
	s_or_b64 exec, exec, s[6:7]
	v_subrev_u32_e32 v20, 36, v7
	v_cmp_gt_u32_e64 s[0:1], 36, v7
	v_cndmask_b32_e64 v33, v20, v7, s[0:1]
	v_lshlrev_b32_e32 v40, 2, v33
	v_mov_b32_e32 v41, 0
	v_lshlrev_b64 v[40:41], 2, v[40:41]
	v_mov_b32_e32 v20, s9
	v_add_co_u32_e64 v40, s[0:1], s8, v40
	v_addc_co_u32_e64 v41, s[0:1], v20, v41, s[0:1]
	v_mov_b32_e32 v20, 57
	v_mul_lo_u16_sdwa v22, v9, v20 dst_sel:DWORD dst_unused:UNUSED_PAD src0_sel:BYTE_0 src1_sel:DWORD
	v_lshrrev_b16_e32 v36, 11, v22
	v_mul_lo_u16_e32 v22, 36, v36
	v_sub_u16_e32 v77, v9, v22
	v_mov_b32_e32 v22, 4
	v_lshlrev_b32_sdwa v44, v22, v77 dst_sel:DWORD dst_unused:UNUSED_PAD src0_sel:DWORD src1_sel:BYTE_0
	s_waitcnt lgkmcnt(0)
	; wave barrier
	s_waitcnt lgkmcnt(0)
	global_load_dwordx4 v[40:43], v[40:41], off offset:136
	s_mov_b32 s11, 0xbb9c
	global_load_dwordx4 v[45:48], v44, s[8:9] offset:136
	v_mul_lo_u16_sdwa v44, v8, v20 dst_sel:DWORD dst_unused:UNUSED_PAD src0_sel:BYTE_0 src1_sel:DWORD
	v_lshrrev_b16_e32 v78, 11, v44
	v_mul_lo_u16_e32 v44, 36, v78
	v_sub_u16_e32 v79, v8, v44
	v_lshlrev_b32_sdwa v44, v22, v79 dst_sel:DWORD dst_unused:UNUSED_PAD src0_sel:DWORD src1_sel:BYTE_0
	global_load_dwordx4 v[69:72], v44, s[8:9] offset:136
	v_mul_lo_u16_sdwa v20, v10, v20 dst_sel:DWORD dst_unused:UNUSED_PAD src0_sel:BYTE_0 src1_sel:DWORD
	v_lshrrev_b16_e32 v80, 11, v20
	v_mul_lo_u16_e32 v20, 36, v80
	v_sub_u16_e32 v81, v10, v20
	v_lshlrev_b32_sdwa v10, v22, v81 dst_sel:DWORD dst_unused:UNUSED_PAD src0_sel:DWORD src1_sel:BYTE_0
	global_load_dwordx4 v[73:76], v10, s[8:9] offset:136
	ds_read_u16 v10, v19
	ds_read_u16 v19, v5
	;; [unrolled: 1-line block ×3, first 2 shown]
	ds_read_u16 v49, v0 offset:630
	ds_read_u16 v50, v0 offset:756
	;; [unrolled: 1-line block ×7, first 2 shown]
	ds_read_u16 v17, v17
	ds_read_u16 v22, v16
	ds_read_u16 v16, v0 offset:1512
	ds_read_u16 v83, v0 offset:1386
	;; [unrolled: 1-line block ×4, first 2 shown]
	ds_read_u16 v20, v6
	ds_read_u16 v85, v0 offset:2394
	ds_read_u16 v51, v0 offset:2016
	ds_read_u16 v86, v0 offset:1890
	s_movk_i32 s13, 0x3b9c
	s_mov_b32 s10, 0xb8b4
	s_movk_i32 s16, 0x38b4
	s_movk_i32 s12, 0x34f2
	v_cmp_lt_u32_e64 s[0:1], 35, v7
	v_lshlrev_b32_e32 v33, 1, v33
	s_waitcnt lgkmcnt(0)
	; wave barrier
	s_waitcnt vmcnt(3) lgkmcnt(0)
	v_mul_f16_sdwa v61, v30, v41 dst_sel:DWORD dst_unused:UNUSED_PAD src0_sel:DWORD src1_sel:WORD_1
	v_mul_f16_sdwa v59, v10, v41 dst_sel:DWORD dst_unused:UNUSED_PAD src0_sel:DWORD src1_sel:WORD_1
	s_waitcnt vmcnt(2)
	v_mul_f16_sdwa v94, v55, v48 dst_sel:DWORD dst_unused:UNUSED_PAD src0_sel:DWORD src1_sel:WORD_1
	v_mul_f16_sdwa v95, v32, v48 dst_sel:DWORD dst_unused:UNUSED_PAD src0_sel:DWORD src1_sel:WORD_1
	v_fma_f16 v62, v10, v41, -v61
	v_fma_f16 v61, v32, v48, v94
	v_fma_f16 v55, v55, v48, -v95
	v_mul_f16_sdwa v63, v16, v42 dst_sel:DWORD dst_unused:UNUSED_PAD src0_sel:DWORD src1_sel:WORD_1
	s_waitcnt vmcnt(1)
	v_mul_f16_sdwa v96, v50, v69 dst_sel:DWORD dst_unused:UNUSED_PAD src0_sel:DWORD src1_sel:WORD_1
	v_mul_f16_sdwa v10, v21, v69 dst_sel:DWORD dst_unused:UNUSED_PAD src0_sel:DWORD src1_sel:WORD_1
	v_fma_f16 v48, v21, v69, v96
	v_fma_f16 v21, v50, v69, -v10
	v_mul_f16_sdwa v10, v52, v70 dst_sel:DWORD dst_unused:UNUSED_PAD src0_sel:DWORD src1_sel:WORD_1
	v_mul_f16_sdwa v64, v37, v42 dst_sel:DWORD dst_unused:UNUSED_PAD src0_sel:DWORD src1_sel:WORD_1
	;; [unrolled: 1-line block ×4, first 2 shown]
	v_fma_f16 v50, v29, v70, v10
	v_mul_f16_sdwa v10, v29, v70 dst_sel:DWORD dst_unused:UNUSED_PAD src0_sel:DWORD src1_sel:WORD_1
	v_fma_f16 v67, v37, v42, v63
	v_fma_f16 v63, v16, v42, -v64
	v_fma_f16 v68, v39, v43, v68
	v_fma_f16 v64, v51, v43, -v87
	v_fma_f16 v43, v52, v70, -v10
	v_mul_f16_sdwa v10, v56, v71 dst_sel:DWORD dst_unused:UNUSED_PAD src0_sel:DWORD src1_sel:WORD_1
	v_mul_f16_sdwa v57, v17, v40 dst_sel:DWORD dst_unused:UNUSED_PAD src0_sel:DWORD src1_sel:WORD_1
	;; [unrolled: 1-line block ×4, first 2 shown]
	v_fma_f16 v52, v27, v71, v10
	v_mul_f16_sdwa v10, v27, v71 dst_sel:DWORD dst_unused:UNUSED_PAD src0_sel:DWORD src1_sel:WORD_1
	v_fma_f16 v65, v38, v40, v57
	v_fma_f16 v57, v34, v45, v88
	v_fma_f16 v51, v49, v45, -v89
	v_fma_f16 v45, v56, v71, -v10
	v_mul_f16_sdwa v10, v82, v72 dst_sel:DWORD dst_unused:UNUSED_PAD src0_sel:DWORD src1_sel:WORD_1
	v_mul_f16_sdwa v92, v54, v47 dst_sel:DWORD dst_unused:UNUSED_PAD src0_sel:DWORD src1_sel:WORD_1
	;; [unrolled: 1-line block ×3, first 2 shown]
	v_fma_f16 v56, v23, v72, v10
	v_mul_f16_sdwa v10, v23, v72 dst_sel:DWORD dst_unused:UNUSED_PAD src0_sel:DWORD src1_sel:WORD_1
	v_fma_f16 v66, v30, v41, v59
	v_fma_f16 v59, v31, v47, v92
	v_fma_f16 v54, v54, v47, -v93
	v_fma_f16 v47, v82, v72, -v10
	s_waitcnt vmcnt(0)
	v_mul_f16_sdwa v10, v84, v73 dst_sel:DWORD dst_unused:UNUSED_PAD src0_sel:DWORD src1_sel:WORD_1
	v_fma_f16 v41, v28, v73, v10
	v_mul_f16_sdwa v10, v28, v73 dst_sel:DWORD dst_unused:UNUSED_PAD src0_sel:DWORD src1_sel:WORD_1
	v_fma_f16 v23, v84, v73, -v10
	v_mul_f16_sdwa v10, v83, v74 dst_sel:DWORD dst_unused:UNUSED_PAD src0_sel:DWORD src1_sel:WORD_1
	v_fma_f16 v42, v25, v74, v10
	v_mul_f16_sdwa v10, v25, v74 dst_sel:DWORD dst_unused:UNUSED_PAD src0_sel:DWORD src1_sel:WORD_1
	v_mul_f16_sdwa v58, v38, v40 dst_sel:DWORD dst_unused:UNUSED_PAD src0_sel:DWORD src1_sel:WORD_1
	;; [unrolled: 1-line block ×4, first 2 shown]
	v_fma_f16 v38, v83, v74, -v10
	v_mul_f16_sdwa v10, v86, v75 dst_sel:DWORD dst_unused:UNUSED_PAD src0_sel:DWORD src1_sel:WORD_1
	v_fma_f16 v60, v17, v40, -v58
	v_fma_f16 v58, v35, v46, v90
	v_fma_f16 v53, v53, v46, -v91
	v_fma_f16 v46, v26, v75, v10
	v_mul_f16_sdwa v10, v26, v75 dst_sel:DWORD dst_unused:UNUSED_PAD src0_sel:DWORD src1_sel:WORD_1
	v_fma_f16 v39, v86, v75, -v10
	v_mul_f16_sdwa v10, v85, v76 dst_sel:DWORD dst_unused:UNUSED_PAD src0_sel:DWORD src1_sel:WORD_1
	v_fma_f16 v49, v24, v76, v10
	v_mul_f16_sdwa v10, v24, v76 dst_sel:DWORD dst_unused:UNUSED_PAD src0_sel:DWORD src1_sel:WORD_1
	v_fma_f16 v40, v85, v76, -v10
	v_add_f16_e32 v10, v15, v65
	v_add_f16_e32 v10, v10, v66
	;; [unrolled: 1-line block ×5, first 2 shown]
	v_fma_f16 v10, v10, -0.5, v15
	v_sub_f16_e32 v16, v60, v64
	v_fma_f16 v17, v16, s11, v10
	v_sub_f16_e32 v25, v62, v63
	v_sub_f16_e32 v26, v65, v66
	;; [unrolled: 1-line block ×3, first 2 shown]
	v_fma_f16 v10, v16, s13, v10
	v_fma_f16 v17, v25, s10, v17
	v_add_f16_e32 v26, v26, v27
	v_fma_f16 v10, v25, s16, v10
	v_fma_f16 v27, v26, s12, v17
	;; [unrolled: 1-line block ×3, first 2 shown]
	v_add_f16_e32 v10, v65, v68
	v_fma_f16 v10, v10, -0.5, v15
	v_fma_f16 v15, v25, s13, v10
	v_sub_f16_e32 v17, v66, v65
	v_sub_f16_e32 v28, v67, v68
	v_fma_f16 v10, v25, s11, v10
	v_add_f16_e32 v17, v17, v28
	v_fma_f16 v10, v16, s16, v10
	v_fma_f16 v25, v17, s12, v10
	v_add_f16_e32 v10, v14, v57
	v_add_f16_e32 v10, v10, v58
	;; [unrolled: 1-line block ×3, first 2 shown]
	v_fma_f16 v15, v16, s10, v15
	v_add_f16_e32 v29, v10, v61
	v_add_f16_e32 v10, v58, v59
	v_fma_f16 v28, v17, s12, v15
	v_fma_f16 v10, v10, -0.5, v14
	v_sub_f16_e32 v15, v51, v55
	v_fma_f16 v16, v15, s11, v10
	v_sub_f16_e32 v17, v53, v54
	v_sub_f16_e32 v30, v57, v58
	;; [unrolled: 1-line block ×3, first 2 shown]
	v_fma_f16 v10, v15, s13, v10
	v_fma_f16 v16, v17, s10, v16
	v_add_f16_e32 v30, v30, v31
	v_fma_f16 v10, v17, s16, v10
	v_fma_f16 v31, v30, s12, v16
	;; [unrolled: 1-line block ×3, first 2 shown]
	v_add_f16_e32 v10, v57, v61
	v_fma_f16 v10, v10, -0.5, v14
	v_fma_f16 v14, v17, s13, v10
	v_sub_f16_e32 v16, v58, v57
	v_sub_f16_e32 v32, v59, v61
	v_fma_f16 v10, v17, s11, v10
	v_add_f16_e32 v16, v16, v32
	v_fma_f16 v10, v15, s16, v10
	v_fma_f16 v34, v16, s12, v10
	v_add_f16_e32 v10, v13, v48
	v_add_f16_e32 v10, v10, v50
	;; [unrolled: 1-line block ×3, first 2 shown]
	v_fma_f16 v14, v15, s10, v14
	v_add_f16_e32 v35, v10, v56
	v_add_f16_e32 v10, v50, v52
	v_fma_f16 v32, v16, s12, v14
	v_fma_f16 v10, v10, -0.5, v13
	v_sub_f16_e32 v14, v21, v47
	v_fma_f16 v15, v14, s11, v10
	v_sub_f16_e32 v16, v43, v45
	v_sub_f16_e32 v17, v48, v50
	;; [unrolled: 1-line block ×3, first 2 shown]
	v_fma_f16 v15, v16, s10, v15
	v_add_f16_e32 v17, v17, v37
	v_fma_f16 v37, v17, s12, v15
	v_fma_f16 v10, v14, s13, v10
	v_add_f16_e32 v15, v48, v56
	v_fma_f16 v10, v16, s16, v10
	v_fma_f16 v13, v15, -0.5, v13
	v_fma_f16 v10, v17, s12, v10
	v_fma_f16 v15, v16, s13, v13
	v_sub_f16_e32 v17, v50, v48
	v_sub_f16_e32 v69, v52, v56
	v_fma_f16 v13, v16, s11, v13
	v_fma_f16 v15, v14, s10, v15
	v_add_f16_e32 v17, v17, v69
	v_fma_f16 v13, v14, s16, v13
	v_add_f16_e32 v14, v42, v46
	v_fma_f16 v72, v17, s12, v15
	v_fma_f16 v73, v17, s12, v13
	v_fma_f16 v15, v14, -0.5, v18
	v_sub_f16_e32 v17, v23, v40
	v_fma_f16 v14, v17, s11, v15
	v_sub_f16_e32 v69, v38, v39
	v_sub_f16_e32 v16, v41, v42
	;; [unrolled: 1-line block ×3, first 2 shown]
	v_fma_f16 v15, v17, s13, v15
	v_fma_f16 v14, v69, s10, v14
	v_add_f16_e32 v16, v16, v70
	v_fma_f16 v15, v69, s16, v15
	v_fma_f16 v14, v16, s12, v14
	;; [unrolled: 1-line block ×3, first 2 shown]
	v_add_f16_e32 v16, v41, v49
	v_add_f16_e32 v13, v18, v41
	v_fma_f16 v18, v16, -0.5, v18
	v_fma_f16 v16, v69, s13, v18
	v_fma_f16 v18, v69, s11, v18
	;; [unrolled: 1-line block ×4, first 2 shown]
	v_mov_b32_e32 v18, 0x168
	v_cndmask_b32_e64 v18, 0, v18, s[0:1]
	v_add3_u32 v69, 0, v18, v33
	v_sub_f16_e32 v70, v42, v41
	v_sub_f16_e32 v71, v46, v49
	ds_write_b16 v69, v24
	ds_write_b16 v69, v27 offset:72
	ds_write_b16 v69, v28 offset:144
	;; [unrolled: 1-line block ×4, first 2 shown]
	v_mov_b32_e32 v24, 1
	v_add_f16_e32 v70, v70, v71
	v_mul_u32_u24_e32 v18, 0x168, v36
	v_lshlrev_b32_sdwa v25, v24, v77 dst_sel:DWORD dst_unused:UNUSED_PAD src0_sel:DWORD src1_sel:BYTE_0
	v_add_f16_e32 v13, v13, v42
	v_fma_f16 v16, v70, s12, v16
	v_fma_f16 v17, v70, s12, v17
	v_add3_u32 v70, 0, v18, v25
	v_mul_u32_u24_e32 v18, 0x168, v78
	v_lshlrev_b32_sdwa v25, v24, v79 dst_sel:DWORD dst_unused:UNUSED_PAD src0_sel:DWORD src1_sel:BYTE_0
	v_add_f16_e32 v13, v13, v46
	v_add3_u32 v71, 0, v18, v25
	v_mul_u32_u24_e32 v18, 0x168, v80
	v_lshlrev_b32_sdwa v24, v24, v81 dst_sel:DWORD dst_unused:UNUSED_PAD src0_sel:DWORD src1_sel:BYTE_0
	v_add_f16_e32 v13, v13, v49
	ds_write_b16 v70, v29
	ds_write_b16 v70, v31 offset:72
	ds_write_b16 v70, v32 offset:144
	;; [unrolled: 1-line block ×4, first 2 shown]
	ds_write_b16 v71, v35
	ds_write_b16 v71, v37 offset:72
	ds_write_b16 v71, v72 offset:144
	;; [unrolled: 1-line block ×4, first 2 shown]
	v_add3_u32 v72, 0, v18, v24
	ds_write_b16 v72, v13
	ds_write_b16 v72, v14 offset:72
	ds_write_b16 v72, v16 offset:144
	;; [unrolled: 1-line block ×4, first 2 shown]
	s_waitcnt lgkmcnt(0)
	; wave barrier
	s_waitcnt lgkmcnt(0)
	ds_read_u16 v24, v0
	ds_read_u16 v26, v0 offset:360
	ds_read_u16 v25, v0 offset:1440
	;; [unrolled: 1-line block ×7, first 2 shown]
	ds_read_u16 v31, v6
	ds_read_u16 v36, v0 offset:2286
	ds_read_u16 v30, v0 offset:2160
	;; [unrolled: 1-line block ×5, first 2 shown]
	v_cmp_gt_u32_e64 s[0:1], 54, v7
	s_and_saveexec_b64 s[6:7], s[0:1]
	s_cbranch_execz .LBB0_31
; %bb.30:
	ds_read_u16 v13, v0 offset:612
	ds_read_u16 v14, v0 offset:972
	;; [unrolled: 1-line block ×5, first 2 shown]
	ds_read_u16 v10, v5
	ds_read_u16 v11, v0 offset:2412
.LBB0_31:
	s_or_b64 exec, exec, s[6:7]
	v_add_f16_e32 v18, v44, v60
	v_add_f16_e32 v18, v18, v62
	;; [unrolled: 1-line block ×5, first 2 shown]
	v_fma_f16 v18, v18, -0.5, v44
	v_sub_f16_e32 v65, v65, v68
	v_fma_f16 v68, v65, s13, v18
	v_sub_f16_e32 v66, v66, v67
	v_fma_f16 v67, v66, s16, v68
	v_sub_f16_e32 v68, v60, v62
	v_sub_f16_e32 v74, v64, v63
	v_fma_f16 v18, v65, s11, v18
	v_add_f16_e32 v68, v68, v74
	v_fma_f16 v18, v66, s10, v18
	v_fma_f16 v67, v68, s12, v67
	;; [unrolled: 1-line block ×3, first 2 shown]
	v_add_f16_e32 v18, v60, v64
	v_fma_f16 v18, v18, -0.5, v44
	v_fma_f16 v44, v66, s11, v18
	v_sub_f16_e32 v60, v62, v60
	v_sub_f16_e32 v62, v63, v64
	v_fma_f16 v18, v66, s13, v18
	v_fma_f16 v44, v65, s16, v44
	v_add_f16_e32 v60, v60, v62
	v_fma_f16 v18, v65, s10, v18
	v_fma_f16 v44, v60, s12, v44
	;; [unrolled: 1-line block ×3, first 2 shown]
	v_add_f16_e32 v18, v20, v51
	v_add_f16_e32 v18, v18, v53
	v_add_f16_e32 v18, v18, v54
	v_add_f16_e32 v62, v18, v55
	v_add_f16_e32 v18, v53, v54
	v_fma_f16 v18, v18, -0.5, v20
	v_sub_f16_e32 v57, v57, v61
	v_fma_f16 v61, v57, s13, v18
	v_sub_f16_e32 v58, v58, v59
	v_fma_f16 v59, v58, s16, v61
	v_sub_f16_e32 v61, v51, v53
	v_sub_f16_e32 v63, v55, v54
	v_fma_f16 v18, v57, s11, v18
	v_add_f16_e32 v61, v61, v63
	v_fma_f16 v18, v58, s10, v18
	v_fma_f16 v59, v61, s12, v59
	;; [unrolled: 1-line block ×3, first 2 shown]
	v_add_f16_e32 v18, v51, v55
	v_fma_f16 v18, v18, -0.5, v20
	v_fma_f16 v20, v58, s11, v18
	v_sub_f16_e32 v51, v53, v51
	v_sub_f16_e32 v53, v54, v55
	v_fma_f16 v18, v58, s13, v18
	v_fma_f16 v20, v57, s16, v20
	v_add_f16_e32 v51, v51, v53
	v_fma_f16 v18, v57, s10, v18
	v_fma_f16 v53, v51, s12, v20
	;; [unrolled: 1-line block ×3, first 2 shown]
	v_add_f16_e32 v18, v19, v21
	v_add_f16_e32 v18, v18, v43
	;; [unrolled: 1-line block ×5, first 2 shown]
	v_fma_f16 v18, v18, -0.5, v19
	v_sub_f16_e32 v20, v48, v56
	v_fma_f16 v48, v20, s13, v18
	v_sub_f16_e32 v50, v50, v52
	v_sub_f16_e32 v52, v21, v43
	;; [unrolled: 1-line block ×3, first 2 shown]
	v_fma_f16 v18, v20, s11, v18
	v_fma_f16 v48, v50, s16, v48
	v_add_f16_e32 v52, v52, v55
	v_fma_f16 v18, v50, s10, v18
	v_fma_f16 v48, v52, s12, v48
	;; [unrolled: 1-line block ×3, first 2 shown]
	v_add_f16_e32 v52, v21, v47
	v_fma_f16 v19, v52, -0.5, v19
	v_fma_f16 v52, v50, s11, v19
	v_sub_f16_e32 v21, v43, v21
	v_sub_f16_e32 v43, v45, v47
	v_fma_f16 v19, v50, s13, v19
	v_fma_f16 v52, v20, s16, v52
	v_add_f16_e32 v21, v21, v43
	v_fma_f16 v19, v20, s10, v19
	v_add_f16_e32 v20, v38, v39
	v_fma_f16 v43, v21, s12, v52
	v_fma_f16 v45, v21, s12, v19
	v_fma_f16 v21, v20, -0.5, v22
	v_sub_f16_e32 v41, v41, v49
	v_fma_f16 v20, v41, s13, v21
	v_sub_f16_e32 v42, v42, v46
	v_sub_f16_e32 v46, v23, v38
	;; [unrolled: 1-line block ×3, first 2 shown]
	v_fma_f16 v21, v41, s11, v21
	v_fma_f16 v20, v42, s16, v20
	v_add_f16_e32 v46, v46, v47
	v_fma_f16 v21, v42, s10, v21
	v_add_f16_e32 v19, v22, v23
	v_fma_f16 v20, v46, s12, v20
	v_fma_f16 v21, v46, s12, v21
	v_add_f16_e32 v46, v23, v40
	v_add_f16_e32 v19, v19, v38
	v_fma_f16 v46, v46, -0.5, v22
	v_sub_f16_e32 v23, v38, v23
	v_sub_f16_e32 v38, v39, v40
	v_fma_f16 v22, v42, s11, v46
	v_add_f16_e32 v23, v23, v38
	v_fma_f16 v38, v42, s13, v46
	v_add_f16_e32 v19, v19, v39
	v_fma_f16 v22, v41, s16, v22
	v_fma_f16 v38, v41, s10, v38
	v_add_f16_e32 v19, v19, v40
	v_fma_f16 v22, v23, s12, v22
	v_fma_f16 v23, v23, s12, v38
	s_waitcnt lgkmcnt(0)
	; wave barrier
	s_waitcnt lgkmcnt(0)
	ds_write_b16 v69, v73
	ds_write_b16 v69, v67 offset:72
	ds_write_b16 v69, v44 offset:144
	ds_write_b16 v69, v60 offset:216
	ds_write_b16 v69, v68 offset:288
	ds_write_b16 v70, v62
	ds_write_b16 v70, v59 offset:72
	ds_write_b16 v70, v53 offset:144
	ds_write_b16 v70, v51 offset:216
	ds_write_b16 v70, v61 offset:288
	;; [unrolled: 5-line block ×4, first 2 shown]
	s_waitcnt lgkmcnt(0)
	; wave barrier
	s_waitcnt lgkmcnt(0)
	ds_read_u16 v38, v0
	ds_read_u16 v40, v0 offset:360
	ds_read_u16 v39, v0 offset:1440
	;; [unrolled: 1-line block ×7, first 2 shown]
	ds_read_u16 v45, v6
	ds_read_u16 v50, v0 offset:2286
	ds_read_u16 v44, v0 offset:2160
	;; [unrolled: 1-line block ×5, first 2 shown]
	s_and_saveexec_b64 s[6:7], s[0:1]
	s_cbranch_execz .LBB0_33
; %bb.32:
	ds_read_u16 v19, v0 offset:612
	ds_read_u16 v20, v0 offset:972
	;; [unrolled: 1-line block ×5, first 2 shown]
	ds_read_u16 v18, v5
	ds_read_u16 v12, v0 offset:2412
.LBB0_33:
	s_or_b64 exec, exec, s[6:7]
	s_and_saveexec_b64 s[6:7], vcc
	s_cbranch_execz .LBB0_36
; %bb.34:
	v_mul_i32_i24_e32 v5, 6, v9
	v_mov_b32_e32 v6, 0
	v_lshlrev_b64 v[52:53], 2, v[5:6]
	v_mov_b32_e32 v0, s9
	v_add_co_u32_e32 v56, vcc, s8, v52
	v_addc_co_u32_e32 v57, vcc, v0, v53, vcc
	global_load_dwordx4 v[52:55], v[56:57], off offset:712
	global_load_dwordx2 v[60:61], v[56:57], off offset:728
	v_mul_u32_u24_e32 v9, 6, v7
	v_lshlrev_b32_e32 v9, 2, v9
	global_load_dwordx4 v[56:59], v9, s[8:9] offset:712
	global_load_dwordx2 v[62:63], v9, s[8:9] offset:728
	v_mul_lo_u32 v0, s5, v3
	v_mul_lo_u32 v5, s4, v4
	v_mad_u64_u32 v[3:4], s[4:5], s4, v3, 0
	s_mov_b32 s5, 0xb574
	s_movk_i32 s11, 0x3574
	v_add3_u32 v4, v4, v5, v0
	s_mov_b32 s6, 0xbcab
	s_mov_b32 s10, 0xbb00
	;; [unrolled: 1-line block ×3, first 2 shown]
	s_movk_i32 s13, 0x39e0
	s_mov_b32 s4, 0xb70e
	s_movk_i32 s16, 0x3a52
	s_mov_b32 s17, 0x16c16c17
	v_lshlrev_b64 v[3:4], 2, v[3:4]
	s_movk_i32 s7, 0x2b26
	s_waitcnt vmcnt(3) lgkmcnt(6)
	v_mul_f16_sdwa v0, v48, v52 dst_sel:DWORD dst_unused:UNUSED_PAD src0_sel:DWORD src1_sel:WORD_1
	s_waitcnt lgkmcnt(0)
	v_mul_f16_sdwa v9, v51, v55 dst_sel:DWORD dst_unused:UNUSED_PAD src0_sel:DWORD src1_sel:WORD_1
	v_mul_f16_sdwa v64, v47, v54 dst_sel:DWORD dst_unused:UNUSED_PAD src0_sel:DWORD src1_sel:WORD_1
	;; [unrolled: 1-line block ×3, first 2 shown]
	s_waitcnt vmcnt(2)
	v_mul_f16_sdwa v66, v49, v60 dst_sel:DWORD dst_unused:UNUSED_PAD src0_sel:DWORD src1_sel:WORD_1
	v_mul_f16_sdwa v5, v50, v61 dst_sel:DWORD dst_unused:UNUSED_PAD src0_sel:DWORD src1_sel:WORD_1
	v_mul_f16_sdwa v67, v36, v61 dst_sel:DWORD dst_unused:UNUSED_PAD src0_sel:DWORD src1_sel:WORD_1
	v_mul_f16_sdwa v68, v34, v52 dst_sel:DWORD dst_unused:UNUSED_PAD src0_sel:DWORD src1_sel:WORD_1
	v_mul_f16_sdwa v69, v32, v54 dst_sel:DWORD dst_unused:UNUSED_PAD src0_sel:DWORD src1_sel:WORD_1
	v_mul_f16_sdwa v70, v37, v55 dst_sel:DWORD dst_unused:UNUSED_PAD src0_sel:DWORD src1_sel:WORD_1
	v_mul_f16_sdwa v71, v35, v60 dst_sel:DWORD dst_unused:UNUSED_PAD src0_sel:DWORD src1_sel:WORD_1
	v_mul_f16_sdwa v72, v33, v53 dst_sel:DWORD dst_unused:UNUSED_PAD src0_sel:DWORD src1_sel:WORD_1
	v_fma_f16 v0, v34, v52, v0
	v_fma_f16 v9, v37, v55, v9
	;; [unrolled: 1-line block ×6, first 2 shown]
	v_fma_f16 v35, v50, v61, -v67
	v_fma_f16 v36, v48, v52, -v68
	;; [unrolled: 1-line block ×6, first 2 shown]
	v_sub_f16_e32 v50, v9, v32
	v_sub_f16_e32 v51, v33, v34
	;; [unrolled: 1-line block ×3, first 2 shown]
	v_add_f16_e32 v52, v36, v35
	v_add_f16_e32 v53, v47, v37
	v_add_f16_e32 v54, v46, v48
	v_add_f16_e32 v0, v0, v5
	v_add_f16_e32 v5, v9, v32
	v_add_f16_e32 v9, v33, v34
	v_sub_f16_e32 v33, v47, v37
	v_add_f16_e32 v37, v50, v51
	v_sub_f16_e32 v32, v36, v35
	v_sub_f16_e32 v34, v46, v48
	;; [unrolled: 1-line block ×4, first 2 shown]
	v_add_f16_e32 v48, v52, v54
	v_add_f16_e32 v60, v0, v9
	v_add_f16_e32 v37, v49, v37
	v_sub_f16_e32 v49, v51, v49
	v_sub_f16_e32 v46, v52, v53
	;; [unrolled: 1-line block ×6, first 2 shown]
	v_add_f16_e32 v33, v33, v34
	v_mul_f16_e32 v36, 0x3846, v36
	v_add_f16_e32 v48, v53, v48
	v_add_f16_e32 v5, v5, v60
	v_mul_f16_e32 v51, 0xbb00, v49
	v_sub_f16_e32 v47, v53, v54
	v_mul_f16_e32 v65, 0x3a52, v46
	v_mul_f16_e32 v53, 0x3a52, v50
	;; [unrolled: 1-line block ×4, first 2 shown]
	v_fma_f16 v64, v35, s5, v36
	v_add_f16_e32 v45, v45, v48
	v_add_f16_e32 v31, v31, v5
	;; [unrolled: 1-line block ×3, first 2 shown]
	v_fma_f16 v35, v35, s11, -v51
	v_sub_f16_e32 v51, v54, v52
	v_sub_f16_e32 v0, v9, v0
	;; [unrolled: 1-line block ×3, first 2 shown]
	v_fma_f16 v48, v48, s6, v45
	v_fma_f16 v5, v5, s6, v31
	v_fma_f16 v52, v51, s12, -v65
	v_fma_f16 v9, v0, s12, -v53
	v_mul_f16_e32 v34, 0xbb00, v32
	v_fma_f16 v32, v32, s10, -v60
	v_fma_f16 v0, v0, s13, -v55
	v_mul_f16_e32 v47, 0x2b26, v47
	v_fma_f16 v50, v50, s16, v55
	v_fma_f16 v66, v61, s5, v60
	;; [unrolled: 1-line block ×3, first 2 shown]
	v_add_f16_e32 v52, v52, v48
	v_fma_f16 v34, v61, s11, -v34
	v_fma_f16 v32, v33, s4, v32
	v_add_f16_e32 v0, v0, v5
	v_fma_f16 v46, v46, s16, v47
	v_add_f16_e32 v50, v50, v5
	;; [unrolled: 2-line block ×3, first 2 shown]
	v_add_f16_e32 v9, v9, v5
	v_fma_f16 v34, v33, s4, v34
	v_fma_f16 v47, v51, s13, -v47
	v_add_f16_e32 v33, v32, v0
	v_sub_f16_e32 v32, v0, v32
	v_sub_f16_e32 v35, v52, v35
	s_waitcnt vmcnt(1)
	v_mul_f16_sdwa v0, v40, v56 dst_sel:DWORD dst_unused:UNUSED_PAD src0_sel:DWORD src1_sel:WORD_1
	s_waitcnt vmcnt(0)
	v_mul_f16_sdwa v5, v44, v63 dst_sel:DWORD dst_unused:UNUSED_PAD src0_sel:DWORD src1_sel:WORD_1
	v_mul_f16_sdwa v52, v41, v57 dst_sel:DWORD dst_unused:UNUSED_PAD src0_sel:DWORD src1_sel:WORD_1
	;; [unrolled: 1-line block ×3, first 2 shown]
	v_add_f16_e32 v46, v46, v48
	v_add_f16_e32 v47, v47, v48
	v_fma_f16 v36, v49, s10, -v36
	v_fma_f16 v0, v26, v56, v0
	v_fma_f16 v5, v30, v63, v5
	v_mul_f16_sdwa v48, v39, v59 dst_sel:DWORD dst_unused:UNUSED_PAD src0_sel:DWORD src1_sel:WORD_1
	v_mul_f16_sdwa v49, v42, v58 dst_sel:DWORD dst_unused:UNUSED_PAD src0_sel:DWORD src1_sel:WORD_1
	v_fma_f16 v52, v27, v57, v52
	v_fma_f16 v55, v29, v62, v55
	v_sub_f16_e32 v53, v9, v34
	v_add_f16_e32 v34, v34, v9
	v_sub_f16_e32 v9, v0, v5
	v_fma_f16 v48, v25, v59, v48
	v_fma_f16 v49, v28, v58, v49
	v_sub_f16_e32 v60, v52, v55
	v_mul_f16_sdwa v27, v27, v57 dst_sel:DWORD dst_unused:UNUSED_PAD src0_sel:DWORD src1_sel:WORD_1
	v_add_f16_e32 v0, v0, v5
	v_add_f16_e32 v52, v52, v55
	v_fma_f16 v36, v37, s4, v36
	v_mul_f16_sdwa v30, v30, v63 dst_sel:DWORD dst_unused:UNUSED_PAD src0_sel:DWORD src1_sel:WORD_1
	v_mul_f16_sdwa v26, v26, v56 dst_sel:DWORD dst_unused:UNUSED_PAD src0_sel:DWORD src1_sel:WORD_1
	;; [unrolled: 1-line block ×5, first 2 shown]
	v_fma_f16 v27, v41, v57, -v27
	v_add_f16_e32 v5, v48, v49
	v_add_f16_e32 v57, v0, v52
	v_fma_f16 v64, v37, s4, v64
	v_sub_f16_e32 v68, v50, v66
	v_sub_f16_e32 v37, v47, v36
	v_add_f16_e32 v36, v36, v47
	v_add_f16_e32 v47, v66, v50
	v_sub_f16_e32 v50, v48, v49
	v_fma_f16 v30, v44, v63, -v30
	v_fma_f16 v26, v40, v56, -v26
	;; [unrolled: 1-line block ×5, first 2 shown]
	v_sub_f16_e32 v48, v0, v5
	v_sub_f16_e32 v55, v5, v52
	v_add_f16_e32 v5, v5, v57
	v_add_f16_e32 v39, v25, v28
	;; [unrolled: 1-line block ×4, first 2 shown]
	v_sub_f16_e32 v24, v26, v30
	v_sub_f16_e32 v25, v25, v28
	;; [unrolled: 1-line block ×3, first 2 shown]
	v_add_f16_e32 v40, v26, v30
	v_sub_f16_e32 v26, v24, v25
	v_sub_f16_e32 v28, v25, v27
	v_add_f16_e32 v25, v25, v27
	v_add_f16_e32 v56, v40, v41
	;; [unrolled: 1-line block ×3, first 2 shown]
	v_sub_f16_e32 v24, v27, v24
	v_sub_f16_e32 v42, v40, v39
	;; [unrolled: 1-line block ×3, first 2 shown]
	v_add_f16_e32 v39, v39, v56
	v_mul_f16_e32 v28, 0x3846, v28
	v_mul_f16_e32 v27, 0xbb00, v24
	;; [unrolled: 1-line block ×4, first 2 shown]
	v_add_f16_e32 v38, v38, v39
	v_fma_f16 v29, v26, s5, v28
	v_sub_f16_e32 v40, v41, v40
	v_fma_f16 v26, v26, s11, -v27
	v_fma_f16 v42, v42, s16, v43
	v_fma_f16 v39, v39, s6, v38
	v_fma_f16 v41, v40, s12, -v44
	v_fma_f16 v27, v25, s4, v26
	v_fma_f16 v26, v40, s13, -v43
	v_add_f16_e32 v42, v42, v39
	v_add_f16_e32 v41, v41, v39
	;; [unrolled: 1-line block ×3, first 2 shown]
	v_lshrrev_b32_e32 v39, 2, v7
	v_mul_hi_u32 v39, v39, s17
	v_mul_f16_e32 v55, 0x2b26, v55
	v_fma_f16 v24, v24, s10, -v28
	v_mul_f16_e32 v49, 0x3a52, v48
	v_fma_f16 v48, v48, s16, v55
	v_fma_f16 v28, v25, s4, v24
	v_lshrrev_b32_e32 v24, 2, v39
	s_movk_i32 s16, 0xb4
	v_mul_lo_u32 v24, v24, s16
	v_fma_f16 v29, v25, s4, v29
	v_sub_f16_e32 v51, v9, v50
	v_sub_f16_e32 v61, v50, v60
	v_sub_u32_e32 v43, v7, v24
	v_mad_u64_u32 v[24:25], s[18:19], s2, v43, 0
	v_add_f16_e32 v50, v50, v60
	v_sub_f16_e32 v0, v52, v0
	v_mul_f16_e32 v61, 0x3846, v61
	v_add_f16_e32 v50, v9, v50
	v_fma_f16 v5, v5, s6, v57
	v_sub_f16_e32 v9, v60, v9
	v_fma_f16 v49, v0, s12, -v49
	v_fma_f16 v0, v0, s13, -v55
	v_mul_f16_e32 v58, 0xbb00, v9
	v_fma_f16 v9, v9, s10, -v61
	v_add_f16_e32 v0, v0, v5
	v_add_f16_e32 v67, v64, v46
	v_sub_f16_e32 v46, v46, v64
	v_fma_f16 v64, v51, s5, v61
	v_fma_f16 v9, v50, s4, v9
	v_add_f16_e32 v39, v28, v0
	v_sub_f16_e32 v28, v0, v28
	v_mov_b32_e32 v0, v25
	v_fma_f16 v64, v50, s4, v64
	v_add_f16_e32 v48, v48, v5
	v_add_f16_e32 v49, v49, v5
	v_sub_f16_e32 v40, v26, v9
	v_add_f16_e32 v9, v9, v26
	v_mad_u64_u32 v[25:26], s[18:19], s3, v43, v[0:1]
	v_mov_b32_e32 v0, s15
	v_add_co_u32_e32 v5, vcc, s14, v3
	v_add_f16_e32 v56, v64, v42
	v_sub_f16_e32 v26, v42, v64
	v_addc_co_u32_e32 v4, vcc, v0, v4, vcc
	v_lshlrev_b64 v[0:1], 2, v[1:2]
	v_add_u32_e32 v42, 0xb4, v43
	v_mad_u64_u32 v[2:3], s[14:15], s2, v42, 0
	v_add_co_u32_e32 v0, vcc, v5, v0
	v_addc_co_u32_e32 v1, vcc, v4, v1, vcc
	v_lshlrev_b64 v[4:5], 2, v[24:25]
	v_sub_f16_e32 v30, v48, v29
	v_mad_u64_u32 v[24:25], s[14:15], s3, v42, v[3:4]
	v_add_co_u32_e32 v3, vcc, v0, v4
	v_addc_co_u32_e32 v4, vcc, v1, v5, vcc
	v_pack_b32_f16 v5, v57, v38
	global_store_dword v[3:4], v5, off
	v_mov_b32_e32 v3, v24
	v_add_u32_e32 v24, 0x168, v43
	v_mad_u64_u32 v[4:5], s[14:15], s2, v24, 0
	v_add_f16_e32 v29, v29, v48
	v_add_u32_e32 v38, 0x21c, v43
	v_mad_u64_u32 v[24:25], s[14:15], s3, v24, v[5:6]
	v_lshlrev_b64 v[2:3], 2, v[2:3]
	v_pack_b32_f16 v29, v29, v26
	v_mad_u64_u32 v[25:26], s[14:15], s2, v38, 0
	v_add_co_u32_e32 v2, vcc, v0, v2
	v_addc_co_u32_e32 v3, vcc, v1, v3, vcc
	v_mov_b32_e32 v5, v24
	global_store_dword v[2:3], v29, off
	v_lshlrev_b64 v[2:3], 2, v[4:5]
	v_mov_b32_e32 v4, v26
	v_fma_f16 v51, v51, s11, -v58
	v_mad_u64_u32 v[4:5], s[14:15], s3, v38, v[4:5]
	v_fma_f16 v51, v50, s4, v51
	v_add_f16_e32 v44, v51, v41
	v_sub_f16_e32 v52, v49, v27
	v_sub_f16_e32 v41, v41, v51
	v_add_f16_e32 v27, v27, v49
	v_add_co_u32_e32 v2, vcc, v0, v2
	v_addc_co_u32_e32 v3, vcc, v1, v3, vcc
	v_pack_b32_f16 v5, v27, v41
	v_add_u32_e32 v24, 0x2d0, v43
	global_store_dword v[2:3], v5, off
	v_mov_b32_e32 v26, v4
	v_mad_u64_u32 v[4:5], s[14:15], s2, v24, 0
	v_lshlrev_b64 v[2:3], 2, v[25:26]
	v_add_u32_e32 v27, 0x384, v43
	v_mad_u64_u32 v[24:25], s[14:15], s3, v24, v[5:6]
	v_mad_u64_u32 v[25:26], s[14:15], s2, v27, 0
	v_add_co_u32_e32 v2, vcc, v0, v2
	v_addc_co_u32_e32 v3, vcc, v1, v3, vcc
	v_pack_b32_f16 v9, v28, v9
	v_mov_b32_e32 v5, v24
	global_store_dword v[2:3], v9, off
	v_lshlrev_b64 v[2:3], 2, v[4:5]
	v_mov_b32_e32 v4, v26
	v_mad_u64_u32 v[4:5], s[14:15], s3, v27, v[4:5]
	v_add_u32_e32 v9, 63, v7
	v_add_co_u32_e32 v2, vcc, v0, v2
	v_mov_b32_e32 v26, v4
	v_lshrrev_b32_e32 v4, 2, v9
	v_mul_hi_u32 v24, v4, s17
	v_addc_co_u32_e32 v3, vcc, v1, v3, vcc
	v_pack_b32_f16 v5, v39, v40
	v_lshrrev_b32_e32 v24, 2, v24
	global_store_dword v[2:3], v5, off
	v_lshlrev_b64 v[2:3], 2, v[25:26]
	v_mul_lo_u32 v25, v24, s16
	v_add_u32_e32 v26, 0x438, v43
	v_mad_u64_u32 v[4:5], s[14:15], s2, v26, 0
	v_sub_u32_e32 v9, v9, v25
	s_movk_i32 s14, 0x4ec
	v_mad_u64_u32 v[24:25], s[14:15], v24, s14, v[9:10]
	v_mad_u64_u32 v[25:26], s[14:15], s3, v26, v[5:6]
	;; [unrolled: 1-line block ×3, first 2 shown]
	v_add_co_u32_e32 v2, vcc, v0, v2
	v_addc_co_u32_e32 v3, vcc, v1, v3, vcc
	v_pack_b32_f16 v28, v52, v44
	v_mov_b32_e32 v5, v25
	global_store_dword v[2:3], v28, off
	v_lshlrev_b64 v[2:3], 2, v[4:5]
	v_mov_b32_e32 v4, v27
	v_mad_u64_u32 v[4:5], s[14:15], s3, v24, v[4:5]
	v_add_co_u32_e32 v2, vcc, v0, v2
	v_addc_co_u32_e32 v3, vcc, v1, v3, vcc
	v_pack_b32_f16 v5, v30, v56
	v_add_u32_e32 v9, 0xb4, v24
	global_store_dword v[2:3], v5, off
	v_mov_b32_e32 v27, v4
	v_mad_u64_u32 v[4:5], s[14:15], s2, v9, 0
	v_lshlrev_b64 v[2:3], 2, v[26:27]
	v_pack_b32_f16 v28, v31, v45
	v_mad_u64_u32 v[25:26], s[14:15], s3, v9, v[5:6]
	v_add_u32_e32 v9, 0x168, v24
	v_mad_u64_u32 v[26:27], s[14:15], s2, v9, 0
	v_add_co_u32_e32 v2, vcc, v0, v2
	v_addc_co_u32_e32 v3, vcc, v1, v3, vcc
	v_mov_b32_e32 v5, v25
	global_store_dword v[2:3], v28, off
	v_lshlrev_b64 v[2:3], 2, v[4:5]
	v_mov_b32_e32 v4, v27
	v_mad_u64_u32 v[4:5], s[14:15], s3, v9, v[4:5]
	v_add_co_u32_e32 v2, vcc, v0, v2
	v_addc_co_u32_e32 v3, vcc, v1, v3, vcc
	v_pack_b32_f16 v5, v47, v46
	v_add_u32_e32 v9, 0x21c, v24
	global_store_dword v[2:3], v5, off
	v_mov_b32_e32 v27, v4
	v_mad_u64_u32 v[4:5], s[14:15], s2, v9, 0
	v_lshlrev_b64 v[2:3], 2, v[26:27]
	v_pack_b32_f16 v28, v34, v35
	v_mad_u64_u32 v[25:26], s[14:15], s3, v9, v[5:6]
	v_add_u32_e32 v9, 0x2d0, v24
	v_mad_u64_u32 v[26:27], s[14:15], s2, v9, 0
	v_add_co_u32_e32 v2, vcc, v0, v2
	v_addc_co_u32_e32 v3, vcc, v1, v3, vcc
	;; [unrolled: 19-line block ×3, first 2 shown]
	v_mov_b32_e32 v5, v25
	global_store_dword v[2:3], v28, off
	v_lshlrev_b64 v[2:3], 2, v[4:5]
	v_mov_b32_e32 v4, v27
	v_mad_u64_u32 v[4:5], s[14:15], s3, v9, v[4:5]
	v_add_co_u32_e32 v2, vcc, v0, v2
	v_addc_co_u32_e32 v3, vcc, v1, v3, vcc
	v_pack_b32_f16 v5, v53, v54
	v_mov_b32_e32 v27, v4
	global_store_dword v[2:3], v5, off
	v_lshlrev_b64 v[2:3], 2, v[26:27]
	v_pack_b32_f16 v4, v68, v67
	v_add_co_u32_e32 v2, vcc, v0, v2
	v_addc_co_u32_e32 v3, vcc, v1, v3, vcc
	global_store_dword v[2:3], v4, off
	v_add_u32_e32 v2, 0x7e, v7
	v_cmp_gt_u32_e32 vcc, s16, v2
	s_and_b64 exec, exec, vcc
	s_cbranch_execz .LBB0_36
; %bb.35:
	v_subrev_u32_e32 v3, 54, v7
	v_cndmask_b32_e64 v3, v3, v8, s[0:1]
	v_mul_i32_i24_e32 v5, 6, v3
	v_lshlrev_b64 v[3:4], 2, v[5:6]
	v_mov_b32_e32 v5, s9
	v_add_co_u32_e32 v8, vcc, s8, v3
	v_addc_co_u32_e32 v9, vcc, v5, v4, vcc
	global_load_dwordx4 v[3:6], v[8:9], off offset:712
	global_load_dwordx2 v[24:25], v[8:9], off offset:728
	s_waitcnt vmcnt(1)
	v_mul_f16_sdwa v8, v19, v3 dst_sel:DWORD dst_unused:UNUSED_PAD src0_sel:DWORD src1_sel:WORD_1
	v_mul_f16_sdwa v9, v13, v3 dst_sel:DWORD dst_unused:UNUSED_PAD src0_sel:DWORD src1_sel:WORD_1
	;; [unrolled: 1-line block ×5, first 2 shown]
	s_waitcnt vmcnt(0)
	v_mul_f16_sdwa v32, v21, v24 dst_sel:DWORD dst_unused:UNUSED_PAD src0_sel:DWORD src1_sel:WORD_1
	v_mul_f16_sdwa v33, v15, v24 dst_sel:DWORD dst_unused:UNUSED_PAD src0_sel:DWORD src1_sel:WORD_1
	;; [unrolled: 1-line block ×7, first 2 shown]
	v_fma_f16 v8, v13, v3, v8
	v_fma_f16 v3, v19, v3, -v9
	v_fma_f16 v9, v14, v4, v26
	v_fma_f16 v4, v20, v4, -v27
	v_fma_f16 v13, v16, v5, v28
	v_fma_f16 v15, v15, v24, v32
	v_fma_f16 v16, v21, v24, -v33
	v_fma_f16 v11, v11, v25, v34
	v_fma_f16 v12, v12, v25, -v35
	v_fma_f16 v5, v22, v5, -v29
	v_fma_f16 v14, v17, v6, v30
	v_fma_f16 v6, v23, v6, -v31
	v_add_f16_e32 v17, v8, v11
	v_add_f16_e32 v19, v3, v12
	v_sub_f16_e32 v8, v8, v11
	v_sub_f16_e32 v3, v3, v12
	v_add_f16_e32 v11, v9, v15
	v_add_f16_e32 v12, v4, v16
	v_sub_f16_e32 v9, v9, v15
	v_sub_f16_e32 v4, v4, v16
	;; [unrolled: 4-line block ×4, first 2 shown]
	v_sub_f16_e32 v17, v17, v15
	v_sub_f16_e32 v19, v19, v16
	;; [unrolled: 1-line block ×4, first 2 shown]
	v_add_f16_e32 v22, v13, v9
	v_add_f16_e32 v23, v5, v4
	v_sub_f16_e32 v24, v13, v9
	v_sub_f16_e32 v25, v5, v4
	;; [unrolled: 1-line block ×3, first 2 shown]
	v_add_f16_e32 v6, v15, v6
	v_add_f16_e32 v14, v16, v14
	v_sub_f16_e32 v13, v8, v13
	v_sub_f16_e32 v5, v3, v5
	v_sub_f16_e32 v9, v9, v8
	v_add_f16_e32 v8, v22, v8
	v_add_f16_e32 v3, v23, v3
	v_mul_f16_e32 v15, 0x3a52, v17
	v_mul_f16_e32 v16, 0x3a52, v19
	;; [unrolled: 1-line block ×7, first 2 shown]
	v_add_f16_e32 v10, v10, v6
	v_add_f16_e32 v18, v18, v14
	v_fma_f16 v11, v11, s7, v15
	v_fma_f16 v12, v12, s7, v16
	v_fma_f16 v17, v20, s13, -v17
	v_fma_f16 v19, v21, s13, -v19
	;; [unrolled: 1-line block ×4, first 2 shown]
	v_fma_f16 v20, v13, s5, v22
	v_fma_f16 v21, v5, s5, v23
	v_fma_f16 v4, v4, s10, -v23
	v_fma_f16 v5, v5, s11, -v25
	v_fma_f16 v6, v6, s6, v10
	v_fma_f16 v14, v14, s6, v18
	v_add_f16_e32 v11, v11, v6
	v_add_f16_e32 v12, v12, v14
	;; [unrolled: 1-line block ×6, first 2 shown]
	v_fma_f16 v15, v8, s4, v20
	v_fma_f16 v16, v3, s4, v21
	;; [unrolled: 1-line block ×4, first 2 shown]
	v_mad_u64_u32 v[3:4], s[0:1], s2, v2, 0
	v_mul_f16_e32 v24, 0xbb00, v9
	v_fma_f16 v9, v9, s10, -v22
	v_fma_f16 v13, v13, s11, -v24
	v_add_f16_e32 v22, v5, v6
	v_sub_f16_e32 v24, v17, v20
	v_add_f16_e32 v17, v20, v17
	v_sub_f16_e32 v20, v6, v5
	v_mad_u64_u32 v[4:5], s[0:1], s3, v2, v[4:5]
	v_add_u32_e32 v6, 0x132, v7
	v_fma_f16 v9, v8, s4, v9
	v_lshlrev_b64 v[2:3], 2, v[3:4]
	v_mad_u64_u32 v[4:5], s[0:1], s2, v6, 0
	v_fma_f16 v8, v8, s4, v13
	v_sub_f16_e32 v23, v14, v8
	v_mad_u64_u32 v[5:6], s[0:1], s3, v6, v[5:6]
	v_add_u32_e32 v6, 0x1e6, v7
	v_add_f16_e32 v25, v9, v19
	v_sub_f16_e32 v19, v19, v9
	v_add_f16_e32 v14, v8, v14
	v_mad_u64_u32 v[8:9], s[0:1], s2, v6, 0
	v_add_co_u32_e32 v2, vcc, v0, v2
	v_addc_co_u32_e32 v3, vcc, v1, v3, vcc
	v_pack_b32_f16 v10, v10, v18
	global_store_dword v[2:3], v10, off
	v_lshlrev_b64 v[2:3], 2, v[4:5]
	v_mov_b32_e32 v4, v9
	v_mad_u64_u32 v[4:5], s[0:1], s3, v6, v[4:5]
	v_add_f16_e32 v13, v16, v11
	v_sub_f16_e32 v21, v12, v15
	v_add_co_u32_e32 v2, vcc, v0, v2
	v_addc_co_u32_e32 v3, vcc, v1, v3, vcc
	v_pack_b32_f16 v5, v13, v21
	v_add_u32_e32 v6, 0x29a, v7
	global_store_dword v[2:3], v5, off
	v_mov_b32_e32 v9, v4
	v_mad_u64_u32 v[4:5], s[0:1], s2, v6, 0
	v_lshlrev_b64 v[2:3], 2, v[8:9]
	v_pack_b32_f16 v10, v22, v23
	v_mad_u64_u32 v[5:6], s[0:1], s3, v6, v[5:6]
	v_add_u32_e32 v6, 0x34e, v7
	v_mad_u64_u32 v[8:9], s[0:1], s2, v6, 0
	v_add_co_u32_e32 v2, vcc, v0, v2
	v_addc_co_u32_e32 v3, vcc, v1, v3, vcc
	global_store_dword v[2:3], v10, off
	v_lshlrev_b64 v[2:3], 2, v[4:5]
	v_mov_b32_e32 v4, v9
	v_mad_u64_u32 v[4:5], s[0:1], s3, v6, v[4:5]
	v_add_co_u32_e32 v2, vcc, v0, v2
	v_addc_co_u32_e32 v3, vcc, v1, v3, vcc
	v_pack_b32_f16 v5, v24, v25
	v_add_u32_e32 v6, 0x402, v7
	global_store_dword v[2:3], v5, off
	v_mov_b32_e32 v9, v4
	v_mad_u64_u32 v[4:5], s[0:1], s2, v6, 0
	v_lshlrev_b64 v[2:3], 2, v[8:9]
	v_add_u32_e32 v9, 0x4b6, v7
	v_mad_u64_u32 v[5:6], s[0:1], s3, v6, v[5:6]
	v_mad_u64_u32 v[6:7], s[0:1], s2, v9, 0
	v_add_co_u32_e32 v2, vcc, v0, v2
	v_addc_co_u32_e32 v3, vcc, v1, v3, vcc
	v_pack_b32_f16 v8, v17, v19
	global_store_dword v[2:3], v8, off
	v_lshlrev_b64 v[2:3], 2, v[4:5]
	v_mov_b32_e32 v4, v7
	v_mad_u64_u32 v[4:5], s[0:1], s3, v9, v[4:5]
	v_add_co_u32_e32 v2, vcc, v0, v2
	v_addc_co_u32_e32 v3, vcc, v1, v3, vcc
	v_pack_b32_f16 v5, v20, v14
	v_mov_b32_e32 v7, v4
	global_store_dword v[2:3], v5, off
	v_lshlrev_b64 v[2:3], 2, v[6:7]
	v_sub_f16_e32 v11, v11, v16
	v_add_f16_e32 v12, v15, v12
	v_add_co_u32_e32 v0, vcc, v0, v2
	v_addc_co_u32_e32 v1, vcc, v1, v3, vcc
	v_pack_b32_f16 v2, v11, v12
	global_store_dword v[0:1], v2, off
.LBB0_36:
	s_endpgm
	.section	.rodata,"a",@progbits
	.p2align	6, 0x0
	.amdhsa_kernel fft_rtc_back_len1260_factors_2_2_3_3_5_7_wgs_63_tpt_63_halfLds_half_op_CI_CI_sbrr_dirReg
		.amdhsa_group_segment_fixed_size 0
		.amdhsa_private_segment_fixed_size 0
		.amdhsa_kernarg_size 104
		.amdhsa_user_sgpr_count 6
		.amdhsa_user_sgpr_private_segment_buffer 1
		.amdhsa_user_sgpr_dispatch_ptr 0
		.amdhsa_user_sgpr_queue_ptr 0
		.amdhsa_user_sgpr_kernarg_segment_ptr 1
		.amdhsa_user_sgpr_dispatch_id 0
		.amdhsa_user_sgpr_flat_scratch_init 0
		.amdhsa_user_sgpr_private_segment_size 0
		.amdhsa_uses_dynamic_stack 0
		.amdhsa_system_sgpr_private_segment_wavefront_offset 0
		.amdhsa_system_sgpr_workgroup_id_x 1
		.amdhsa_system_sgpr_workgroup_id_y 0
		.amdhsa_system_sgpr_workgroup_id_z 0
		.amdhsa_system_sgpr_workgroup_info 0
		.amdhsa_system_vgpr_workitem_id 0
		.amdhsa_next_free_vgpr 112
		.amdhsa_next_free_sgpr 32
		.amdhsa_reserve_vcc 1
		.amdhsa_reserve_flat_scratch 0
		.amdhsa_float_round_mode_32 0
		.amdhsa_float_round_mode_16_64 0
		.amdhsa_float_denorm_mode_32 3
		.amdhsa_float_denorm_mode_16_64 3
		.amdhsa_dx10_clamp 1
		.amdhsa_ieee_mode 1
		.amdhsa_fp16_overflow 0
		.amdhsa_exception_fp_ieee_invalid_op 0
		.amdhsa_exception_fp_denorm_src 0
		.amdhsa_exception_fp_ieee_div_zero 0
		.amdhsa_exception_fp_ieee_overflow 0
		.amdhsa_exception_fp_ieee_underflow 0
		.amdhsa_exception_fp_ieee_inexact 0
		.amdhsa_exception_int_div_zero 0
	.end_amdhsa_kernel
	.text
.Lfunc_end0:
	.size	fft_rtc_back_len1260_factors_2_2_3_3_5_7_wgs_63_tpt_63_halfLds_half_op_CI_CI_sbrr_dirReg, .Lfunc_end0-fft_rtc_back_len1260_factors_2_2_3_3_5_7_wgs_63_tpt_63_halfLds_half_op_CI_CI_sbrr_dirReg
                                        ; -- End function
	.section	.AMDGPU.csdata,"",@progbits
; Kernel info:
; codeLenInByte = 16208
; NumSgprs: 36
; NumVgprs: 112
; ScratchSize: 0
; MemoryBound: 0
; FloatMode: 240
; IeeeMode: 1
; LDSByteSize: 0 bytes/workgroup (compile time only)
; SGPRBlocks: 4
; VGPRBlocks: 27
; NumSGPRsForWavesPerEU: 36
; NumVGPRsForWavesPerEU: 112
; Occupancy: 2
; WaveLimiterHint : 1
; COMPUTE_PGM_RSRC2:SCRATCH_EN: 0
; COMPUTE_PGM_RSRC2:USER_SGPR: 6
; COMPUTE_PGM_RSRC2:TRAP_HANDLER: 0
; COMPUTE_PGM_RSRC2:TGID_X_EN: 1
; COMPUTE_PGM_RSRC2:TGID_Y_EN: 0
; COMPUTE_PGM_RSRC2:TGID_Z_EN: 0
; COMPUTE_PGM_RSRC2:TIDIG_COMP_CNT: 0
	.type	__hip_cuid_6ce6b499f9aabe76,@object ; @__hip_cuid_6ce6b499f9aabe76
	.section	.bss,"aw",@nobits
	.globl	__hip_cuid_6ce6b499f9aabe76
__hip_cuid_6ce6b499f9aabe76:
	.byte	0                               ; 0x0
	.size	__hip_cuid_6ce6b499f9aabe76, 1

	.ident	"AMD clang version 19.0.0git (https://github.com/RadeonOpenCompute/llvm-project roc-6.4.0 25133 c7fe45cf4b819c5991fe208aaa96edf142730f1d)"
	.section	".note.GNU-stack","",@progbits
	.addrsig
	.addrsig_sym __hip_cuid_6ce6b499f9aabe76
	.amdgpu_metadata
---
amdhsa.kernels:
  - .args:
      - .actual_access:  read_only
        .address_space:  global
        .offset:         0
        .size:           8
        .value_kind:     global_buffer
      - .offset:         8
        .size:           8
        .value_kind:     by_value
      - .actual_access:  read_only
        .address_space:  global
        .offset:         16
        .size:           8
        .value_kind:     global_buffer
      - .actual_access:  read_only
        .address_space:  global
        .offset:         24
        .size:           8
        .value_kind:     global_buffer
      - .actual_access:  read_only
        .address_space:  global
        .offset:         32
        .size:           8
        .value_kind:     global_buffer
      - .offset:         40
        .size:           8
        .value_kind:     by_value
      - .actual_access:  read_only
        .address_space:  global
        .offset:         48
        .size:           8
        .value_kind:     global_buffer
      - .actual_access:  read_only
        .address_space:  global
        .offset:         56
        .size:           8
        .value_kind:     global_buffer
      - .offset:         64
        .size:           4
        .value_kind:     by_value
      - .actual_access:  read_only
        .address_space:  global
        .offset:         72
        .size:           8
        .value_kind:     global_buffer
      - .actual_access:  read_only
        .address_space:  global
        .offset:         80
        .size:           8
        .value_kind:     global_buffer
      - .actual_access:  read_only
        .address_space:  global
        .offset:         88
        .size:           8
        .value_kind:     global_buffer
      - .actual_access:  write_only
        .address_space:  global
        .offset:         96
        .size:           8
        .value_kind:     global_buffer
    .group_segment_fixed_size: 0
    .kernarg_segment_align: 8
    .kernarg_segment_size: 104
    .language:       OpenCL C
    .language_version:
      - 2
      - 0
    .max_flat_workgroup_size: 63
    .name:           fft_rtc_back_len1260_factors_2_2_3_3_5_7_wgs_63_tpt_63_halfLds_half_op_CI_CI_sbrr_dirReg
    .private_segment_fixed_size: 0
    .sgpr_count:     36
    .sgpr_spill_count: 0
    .symbol:         fft_rtc_back_len1260_factors_2_2_3_3_5_7_wgs_63_tpt_63_halfLds_half_op_CI_CI_sbrr_dirReg.kd
    .uniform_work_group_size: 1
    .uses_dynamic_stack: false
    .vgpr_count:     112
    .vgpr_spill_count: 0
    .wavefront_size: 64
amdhsa.target:   amdgcn-amd-amdhsa--gfx906
amdhsa.version:
  - 1
  - 2
...

	.end_amdgpu_metadata
